;; amdgpu-corpus repo=ROCm/rocFFT kind=compiled arch=gfx950 opt=O3
	.text
	.amdgcn_target "amdgcn-amd-amdhsa--gfx950"
	.amdhsa_code_object_version 6
	.protected	fft_rtc_back_len1440_factors_10_16_3_3_wgs_90_tpt_90_halfLds_dp_ip_CI_unitstride_sbrr_R2C_dirReg ; -- Begin function fft_rtc_back_len1440_factors_10_16_3_3_wgs_90_tpt_90_halfLds_dp_ip_CI_unitstride_sbrr_R2C_dirReg
	.globl	fft_rtc_back_len1440_factors_10_16_3_3_wgs_90_tpt_90_halfLds_dp_ip_CI_unitstride_sbrr_R2C_dirReg
	.p2align	8
	.type	fft_rtc_back_len1440_factors_10_16_3_3_wgs_90_tpt_90_halfLds_dp_ip_CI_unitstride_sbrr_R2C_dirReg,@function
fft_rtc_back_len1440_factors_10_16_3_3_wgs_90_tpt_90_halfLds_dp_ip_CI_unitstride_sbrr_R2C_dirReg: ; @fft_rtc_back_len1440_factors_10_16_3_3_wgs_90_tpt_90_halfLds_dp_ip_CI_unitstride_sbrr_R2C_dirReg
; %bb.0:
	s_load_dwordx2 s[8:9], s[0:1], 0x50
	s_load_dwordx4 s[4:7], s[0:1], 0x0
	s_load_dwordx2 s[10:11], s[0:1], 0x18
	v_mul_u32_u24_e32 v1, 0x2d9, v0
	v_add_u32_sdwa v6, s2, v1 dst_sel:DWORD dst_unused:UNUSED_PAD src0_sel:DWORD src1_sel:WORD_1
	v_mov_b32_e32 v4, 0
	s_waitcnt lgkmcnt(0)
	v_cmp_lt_u64_e64 s[2:3], s[6:7], 2
	v_mov_b32_e32 v7, v4
	s_and_b64 vcc, exec, s[2:3]
	v_mov_b64_e32 v[2:3], 0
	s_cbranch_vccnz .LBB0_8
; %bb.1:
	s_load_dwordx2 s[2:3], s[0:1], 0x10
	s_add_u32 s12, s10, 8
	s_addc_u32 s13, s11, 0
	s_mov_b64 s[14:15], 1
	v_mov_b64_e32 v[2:3], 0
	s_waitcnt lgkmcnt(0)
	s_add_u32 s16, s2, 8
	s_addc_u32 s17, s3, 0
.LBB0_2:                                ; =>This Inner Loop Header: Depth=1
	s_load_dwordx2 s[18:19], s[16:17], 0x0
                                        ; implicit-def: $vgpr8_vgpr9
	s_waitcnt lgkmcnt(0)
	v_or_b32_e32 v5, s19, v7
	v_cmp_ne_u64_e32 vcc, 0, v[4:5]
	s_and_saveexec_b64 s[2:3], vcc
	s_xor_b64 s[20:21], exec, s[2:3]
	s_cbranch_execz .LBB0_4
; %bb.3:                                ;   in Loop: Header=BB0_2 Depth=1
	v_cvt_f32_u32_e32 v1, s18
	v_cvt_f32_u32_e32 v5, s19
	s_sub_u32 s2, 0, s18
	s_subb_u32 s3, 0, s19
	v_fmac_f32_e32 v1, 0x4f800000, v5
	v_rcp_f32_e32 v1, v1
	s_nop 0
	v_mul_f32_e32 v1, 0x5f7ffffc, v1
	v_mul_f32_e32 v5, 0x2f800000, v1
	v_trunc_f32_e32 v5, v5
	v_fmac_f32_e32 v1, 0xcf800000, v5
	v_cvt_u32_f32_e32 v5, v5
	v_cvt_u32_f32_e32 v1, v1
	v_mul_lo_u32 v8, s2, v5
	v_mul_hi_u32 v10, s2, v1
	v_mul_lo_u32 v9, s3, v1
	v_add_u32_e32 v10, v10, v8
	v_mul_lo_u32 v12, s2, v1
	v_add_u32_e32 v13, v10, v9
	v_mul_hi_u32 v8, v1, v12
	v_mul_hi_u32 v11, v1, v13
	v_mul_lo_u32 v10, v1, v13
	v_mov_b32_e32 v9, v4
	v_lshl_add_u64 v[8:9], v[8:9], 0, v[10:11]
	v_mul_hi_u32 v11, v5, v12
	v_mul_lo_u32 v12, v5, v12
	v_add_co_u32_e32 v8, vcc, v8, v12
	v_mul_hi_u32 v10, v5, v13
	s_nop 0
	v_addc_co_u32_e32 v8, vcc, v9, v11, vcc
	v_mov_b32_e32 v9, v4
	s_nop 0
	v_addc_co_u32_e32 v11, vcc, 0, v10, vcc
	v_mul_lo_u32 v10, v5, v13
	v_lshl_add_u64 v[8:9], v[8:9], 0, v[10:11]
	v_add_co_u32_e32 v1, vcc, v1, v8
	v_mul_lo_u32 v10, s2, v1
	s_nop 0
	v_addc_co_u32_e32 v5, vcc, v5, v9, vcc
	v_mul_lo_u32 v8, s2, v5
	v_mul_hi_u32 v9, s2, v1
	v_add_u32_e32 v8, v9, v8
	v_mul_lo_u32 v9, s3, v1
	v_add_u32_e32 v12, v8, v9
	v_mul_hi_u32 v14, v5, v10
	v_mul_lo_u32 v15, v5, v10
	v_mul_hi_u32 v9, v1, v12
	v_mul_lo_u32 v8, v1, v12
	v_mul_hi_u32 v10, v1, v10
	v_mov_b32_e32 v11, v4
	v_lshl_add_u64 v[8:9], v[10:11], 0, v[8:9]
	v_add_co_u32_e32 v8, vcc, v8, v15
	v_mul_hi_u32 v13, v5, v12
	s_nop 0
	v_addc_co_u32_e32 v8, vcc, v9, v14, vcc
	v_mul_lo_u32 v10, v5, v12
	s_nop 0
	v_addc_co_u32_e32 v11, vcc, 0, v13, vcc
	v_mov_b32_e32 v9, v4
	v_lshl_add_u64 v[8:9], v[8:9], 0, v[10:11]
	v_add_co_u32_e32 v1, vcc, v1, v8
	v_mul_hi_u32 v10, v6, v1
	s_nop 0
	v_addc_co_u32_e32 v5, vcc, v5, v9, vcc
	v_mad_u64_u32 v[8:9], s[2:3], v6, v5, 0
	v_mov_b32_e32 v11, v4
	v_lshl_add_u64 v[8:9], v[10:11], 0, v[8:9]
	v_mad_u64_u32 v[12:13], s[2:3], v7, v1, 0
	v_add_co_u32_e32 v1, vcc, v8, v12
	v_mad_u64_u32 v[10:11], s[2:3], v7, v5, 0
	s_nop 0
	v_addc_co_u32_e32 v8, vcc, v9, v13, vcc
	v_mov_b32_e32 v9, v4
	s_nop 0
	v_addc_co_u32_e32 v11, vcc, 0, v11, vcc
	v_lshl_add_u64 v[8:9], v[8:9], 0, v[10:11]
	v_mul_lo_u32 v1, s19, v8
	v_mul_lo_u32 v5, s18, v9
	v_mad_u64_u32 v[10:11], s[2:3], s18, v8, 0
	v_add3_u32 v1, v11, v5, v1
	v_sub_u32_e32 v5, v7, v1
	v_mov_b32_e32 v11, s19
	v_sub_co_u32_e32 v14, vcc, v6, v10
	v_lshl_add_u64 v[12:13], v[8:9], 0, 1
	s_nop 0
	v_subb_co_u32_e64 v5, s[2:3], v5, v11, vcc
	v_subrev_co_u32_e64 v10, s[2:3], s18, v14
	v_subb_co_u32_e32 v1, vcc, v7, v1, vcc
	s_nop 0
	v_subbrev_co_u32_e64 v5, s[2:3], 0, v5, s[2:3]
	v_cmp_le_u32_e64 s[2:3], s19, v5
	v_cmp_le_u32_e32 vcc, s19, v1
	s_nop 0
	v_cndmask_b32_e64 v11, 0, -1, s[2:3]
	v_cmp_le_u32_e64 s[2:3], s18, v10
	s_nop 1
	v_cndmask_b32_e64 v10, 0, -1, s[2:3]
	v_cmp_eq_u32_e64 s[2:3], s19, v5
	s_nop 1
	v_cndmask_b32_e64 v5, v11, v10, s[2:3]
	v_lshl_add_u64 v[10:11], v[8:9], 0, 2
	v_cmp_ne_u32_e64 s[2:3], 0, v5
	s_nop 1
	v_cndmask_b32_e64 v5, v13, v11, s[2:3]
	v_cndmask_b32_e64 v11, 0, -1, vcc
	v_cmp_le_u32_e32 vcc, s18, v14
	s_nop 1
	v_cndmask_b32_e64 v13, 0, -1, vcc
	v_cmp_eq_u32_e32 vcc, s19, v1
	s_nop 1
	v_cndmask_b32_e32 v1, v11, v13, vcc
	v_cmp_ne_u32_e32 vcc, 0, v1
	v_cndmask_b32_e64 v1, v12, v10, s[2:3]
	s_nop 0
	v_cndmask_b32_e32 v9, v9, v5, vcc
	v_cndmask_b32_e32 v8, v8, v1, vcc
.LBB0_4:                                ;   in Loop: Header=BB0_2 Depth=1
	s_andn2_saveexec_b64 s[2:3], s[20:21]
	s_cbranch_execz .LBB0_6
; %bb.5:                                ;   in Loop: Header=BB0_2 Depth=1
	v_cvt_f32_u32_e32 v1, s18
	s_sub_i32 s20, 0, s18
	v_rcp_iflag_f32_e32 v1, v1
	s_nop 0
	v_mul_f32_e32 v1, 0x4f7ffffe, v1
	v_cvt_u32_f32_e32 v1, v1
	v_mul_lo_u32 v5, s20, v1
	v_mul_hi_u32 v5, v1, v5
	v_add_u32_e32 v1, v1, v5
	v_mul_hi_u32 v1, v6, v1
	v_mul_lo_u32 v5, v1, s18
	v_sub_u32_e32 v5, v6, v5
	v_add_u32_e32 v8, 1, v1
	v_subrev_u32_e32 v9, s18, v5
	v_cmp_le_u32_e32 vcc, s18, v5
	s_nop 1
	v_cndmask_b32_e32 v5, v5, v9, vcc
	v_cndmask_b32_e32 v1, v1, v8, vcc
	v_add_u32_e32 v8, 1, v1
	v_cmp_le_u32_e32 vcc, s18, v5
	v_mov_b32_e32 v9, v4
	s_nop 0
	v_cndmask_b32_e32 v8, v1, v8, vcc
.LBB0_6:                                ;   in Loop: Header=BB0_2 Depth=1
	s_or_b64 exec, exec, s[2:3]
	v_mad_u64_u32 v[10:11], s[2:3], v8, s18, 0
	s_load_dwordx2 s[2:3], s[12:13], 0x0
	v_mul_lo_u32 v1, v9, s18
	v_mul_lo_u32 v5, v8, s19
	v_add3_u32 v1, v11, v5, v1
	v_sub_co_u32_e32 v5, vcc, v6, v10
	s_add_u32 s14, s14, 1
	s_nop 0
	v_subb_co_u32_e32 v1, vcc, v7, v1, vcc
	s_addc_u32 s15, s15, 0
	s_waitcnt lgkmcnt(0)
	v_mul_lo_u32 v1, s2, v1
	v_mul_lo_u32 v6, s3, v5
	v_mad_u64_u32 v[2:3], s[2:3], s2, v5, v[2:3]
	s_add_u32 s12, s12, 8
	v_add3_u32 v3, v6, v3, v1
	s_addc_u32 s13, s13, 0
	v_mov_b64_e32 v[6:7], s[6:7]
	s_add_u32 s16, s16, 8
	v_cmp_ge_u64_e32 vcc, s[14:15], v[6:7]
	s_addc_u32 s17, s17, 0
	s_cbranch_vccnz .LBB0_9
; %bb.7:                                ;   in Loop: Header=BB0_2 Depth=1
	v_mov_b64_e32 v[6:7], v[8:9]
	s_branch .LBB0_2
.LBB0_8:
	v_mov_b64_e32 v[8:9], v[6:7]
.LBB0_9:
	s_lshl_b64 s[2:3], s[6:7], 3
	s_add_u32 s2, s10, s2
	s_addc_u32 s3, s11, s3
	s_load_dwordx2 s[6:7], s[2:3], 0x0
	s_load_dwordx2 s[10:11], s[0:1], 0x20
	s_mov_b32 s2, 0x2d82d83
                                        ; implicit-def: $vgpr76
	s_waitcnt lgkmcnt(0)
	v_mul_lo_u32 v1, s6, v9
	v_mul_lo_u32 v4, s7, v8
	v_mad_u64_u32 v[2:3], s[0:1], s6, v8, v[2:3]
	v_add3_u32 v3, v4, v3, v1
	v_mul_hi_u32 v1, v0, s2
	v_mul_u32_u24_e32 v1, 0x5a, v1
	v_cmp_gt_u64_e64 s[0:1], s[10:11], v[8:9]
	v_cmp_le_u64_e32 vcc, s[10:11], v[8:9]
	v_sub_u32_e32 v72, v0, v1
	s_and_saveexec_b64 s[2:3], vcc
	s_xor_b64 s[2:3], exec, s[2:3]
; %bb.10:
	v_add_u32_e32 v76, 0x5a, v72
; %bb.11:
	s_or_saveexec_b64 s[2:3], s[2:3]
	v_lshl_add_u64 v[74:75], v[2:3], 4, s[8:9]
	v_lshl_add_u32 v118, v72, 4, 0
	s_xor_b64 exec, exec, s[2:3]
	s_cbranch_execz .LBB0_13
; %bb.12:
	v_mov_b32_e32 v73, 0
	v_lshl_add_u64 v[56:57], v[72:73], 4, v[74:75]
	v_add_co_u32_e32 v24, vcc, 0x1000, v56
	global_load_dwordx4 v[0:3], v[56:57], off
	global_load_dwordx4 v[4:7], v[56:57], off offset:1440
	v_addc_co_u32_e32 v25, vcc, 0, v57, vcc
	v_add_co_u32_e32 v48, vcc, 0x2000, v56
	global_load_dwordx4 v[8:11], v[56:57], off offset:2880
	global_load_dwordx4 v[12:15], v[24:25], off offset:224
	;; [unrolled: 1-line block ×4, first 2 shown]
	v_addc_co_u32_e32 v49, vcc, 0, v57, vcc
	v_add_co_u32_e32 v50, vcc, 0x3000, v56
	global_load_dwordx4 v[24:27], v[48:49], off offset:448
	global_load_dwordx4 v[28:31], v[48:49], off offset:1888
	v_addc_co_u32_e32 v51, vcc, 0, v57, vcc
	v_add_co_u32_e32 v64, vcc, 0x4000, v56
	global_load_dwordx4 v[32:35], v[48:49], off offset:3328
	global_load_dwordx4 v[36:39], v[50:51], off offset:672
	;; [unrolled: 1-line block ×4, first 2 shown]
	v_addc_co_u32_e32 v65, vcc, 0, v57, vcc
	v_add_co_u32_e32 v66, vcc, 0x5000, v56
	global_load_dwordx4 v[48:51], v[64:65], off offset:896
	global_load_dwordx4 v[52:55], v[64:65], off offset:2336
	v_addc_co_u32_e32 v67, vcc, 0, v57, vcc
	global_load_dwordx4 v[56:59], v[64:65], off offset:3776
	global_load_dwordx4 v[60:63], v[66:67], off offset:1120
	v_add_u32_e32 v76, 0x5a, v72
	s_waitcnt vmcnt(15)
	ds_write_b128 v118, v[0:3]
	s_waitcnt vmcnt(14)
	ds_write_b128 v118, v[4:7] offset:1440
	s_waitcnt vmcnt(13)
	ds_write_b128 v118, v[8:11] offset:2880
	;; [unrolled: 2-line block ×15, first 2 shown]
.LBB0_13:
	s_or_b64 exec, exec, s[2:3]
	s_waitcnt lgkmcnt(0)
	s_barrier
	ds_read_b128 v[8:11], v118 offset:2304
	ds_read_b128 v[0:3], v118 offset:3744
	;; [unrolled: 1-line block ×10, first 2 shown]
	s_waitcnt lgkmcnt(7)
	v_add_f64 v[56:57], v[8:9], v[4:5]
	s_waitcnt lgkmcnt(3)
	v_add_f64 v[28:29], v[40:41], v[44:45]
	v_fma_f64 v[64:65], -0.5, v[28:29], v[8:9]
	s_waitcnt lgkmcnt(1)
	v_add_f64 v[28:29], v[4:5], v[52:53]
	v_fmac_f64_e32 v[8:9], -0.5, v[28:29]
	v_add_f64 v[28:29], v[40:41], -v[4:5]
	v_add_f64 v[30:31], v[44:45], -v[52:53]
	v_add_f64 v[70:71], v[28:29], v[30:31]
	v_add_f64 v[28:29], v[42:43], v[46:47]
	s_mov_b32 s10, 0x134454ff
	v_fma_f64 v[68:69], -0.5, v[28:29], v[10:11]
	v_add_f64 v[28:29], v[6:7], v[54:55]
	s_mov_b32 s11, 0xbfee6f0e
	s_mov_b32 s12, 0x4755a5e
	;; [unrolled: 1-line block ×4, first 2 shown]
	v_add_f64 v[62:63], v[10:11], v[6:7]
	v_fmac_f64_e32 v[10:11], -0.5, v[28:29]
	v_add_f64 v[28:29], v[42:43], -v[6:7]
	v_add_f64 v[30:31], v[46:47], -v[54:55]
	;; [unrolled: 1-line block ×3, first 2 shown]
	s_mov_b32 s13, 0xbfe2cf23
	s_mov_b32 s8, 0x372fe950
	v_add_f64 v[66:67], v[42:43], -v[46:47]
	v_add_f64 v[86:87], v[28:29], v[30:31]
	v_fma_f64 v[88:89], s[10:11], v[78:79], v[10:11]
	v_fmac_f64_e32 v[10:11], s[2:3], v[78:79]
	v_add_f64 v[82:83], v[4:5], -v[52:53]
	ds_read_b128 v[36:39], v118 offset:13824
	ds_read_b128 v[32:35], v118 offset:9216
	ds_read_b128 v[28:31], v118
	ds_read_b128 v[58:61], v118 offset:4608
	ds_read_b128 v[110:113], v118 offset:18432
	s_mov_b32 s9, 0x3fd3c6ef
	s_mov_b32 s7, 0x3fe2cf23
	;; [unrolled: 1-line block ×3, first 2 shown]
	v_fma_f64 v[84:85], s[2:3], v[66:67], v[8:9]
	v_fmac_f64_e32 v[8:9], s[10:11], v[66:67]
	v_add_f64 v[80:81], v[6:7], -v[54:55]
	v_fmac_f64_e32 v[10:11], s[12:13], v[82:83]
	v_fmac_f64_e32 v[8:9], s[6:7], v[80:81]
	;; [unrolled: 1-line block ×3, first 2 shown]
	s_mov_b32 s15, 0xbfd3c6ef
	s_mov_b32 s14, s8
	v_fmac_f64_e32 v[8:9], s[8:9], v[70:71]
	v_mul_f64 v[114:115], v[10:11], s[10:11]
	v_mul_f64 v[10:11], v[10:11], s[14:15]
	v_fmac_f64_e32 v[114:115], s[14:15], v[8:9]
	v_fmac_f64_e32 v[10:11], s[2:3], v[8:9]
	s_waitcnt lgkmcnt(3)
	v_add_f64 v[8:9], v[32:33], v[36:37]
	s_waitcnt lgkmcnt(2)
	v_fma_f64 v[90:91], -0.5, v[8:9], v[28:29]
	s_waitcnt lgkmcnt(0)
	v_add_f64 v[8:9], v[58:59], v[110:111]
	v_add_f64 v[116:117], v[28:29], v[58:59]
	v_fmac_f64_e32 v[28:29], -0.5, v[8:9]
	v_add_f64 v[8:9], v[32:33], -v[58:59]
	v_add_f64 v[48:49], v[36:37], -v[110:111]
	;; [unrolled: 1-line block ×3, first 2 shown]
	v_add_f64 v[102:103], v[8:9], v[48:49]
	v_add_f64 v[8:9], v[34:35], v[38:39]
	v_fma_f64 v[100:101], s[2:3], v[94:95], v[28:29]
	v_fmac_f64_e32 v[28:29], s[10:11], v[94:95]
	v_add_f64 v[98:99], v[60:61], -v[112:113]
	v_fma_f64 v[92:93], -0.5, v[8:9], v[30:31]
	v_add_f64 v[8:9], v[60:61], v[112:113]
	v_fmac_f64_e32 v[28:29], s[6:7], v[98:99]
	v_add_f64 v[120:121], v[30:31], v[60:61]
	v_fmac_f64_e32 v[30:31], -0.5, v[8:9]
	v_add_f64 v[8:9], v[34:35], -v[60:61]
	v_add_f64 v[48:49], v[38:39], -v[112:113]
	v_fmac_f64_e32 v[28:29], s[8:9], v[102:103]
	v_add_f64 v[108:109], v[8:9], v[48:49]
	v_add_f64 v[104:105], v[58:59], -v[110:111]
	v_add_f64 v[48:49], v[28:29], v[114:115]
	v_add_f64 v[8:9], v[28:29], -v[114:115]
	v_add_f64 v[114:115], v[58:59], -v[32:33]
	v_add_f64 v[58:59], v[116:117], v[32:33]
	v_add_f64 v[116:117], v[120:121], v[34:35]
	;; [unrolled: 1-line block ×3, first 2 shown]
	v_add_f64 v[122:123], v[112:113], -v[38:39]
	v_add_f64 v[112:113], v[116:117], v[112:113]
	v_add_f64 v[116:117], v[4:5], -v[40:41]
	v_add_f64 v[4:5], v[56:57], v[40:41]
	v_add_f64 v[58:59], v[58:59], v[36:37]
	v_add_f64 v[124:125], v[6:7], -v[42:43]
	v_add_f64 v[6:7], v[62:63], v[42:43]
	;; [unrolled: 3-line block ×3, first 2 shown]
	v_add_f64 v[6:7], v[6:7], v[46:47]
	v_add_f64 v[44:45], v[52:53], -v[44:45]
	v_add_f64 v[46:47], v[54:55], -v[46:47]
	v_add_f64 v[4:5], v[4:5], v[52:53]
	v_add_f64 v[56:57], v[110:111], v[4:5]
	v_add_f64 v[4:5], v[110:111], -v[4:5]
	v_add_f64 v[110:111], v[114:115], v[120:121]
	v_add_f64 v[114:115], v[116:117], v[44:45]
	;; [unrolled: 1-line block ×3, first 2 shown]
	v_fma_f64 v[46:47], s[2:3], v[82:83], v[68:69]
	v_fma_f64 v[44:45], s[10:11], v[80:81], v[64:65]
	v_fmac_f64_e32 v[46:47], s[6:7], v[78:79]
	v_fmac_f64_e32 v[44:45], s[12:13], v[66:67]
	;; [unrolled: 1-line block ×3, first 2 shown]
	s_mov_b32 s16, 0x9b97f4a8
	v_fmac_f64_e32 v[44:45], s[8:9], v[114:115]
	s_mov_b32 s17, 0x3fe9e377
	v_mul_f64 v[52:53], v[46:47], s[12:13]
	v_add_f64 v[96:97], v[32:33], -v[36:37]
	v_fmac_f64_e32 v[52:53], s[16:17], v[44:45]
	v_mul_f64 v[44:45], v[44:45], s[6:7]
	v_fma_f64 v[106:107], s[10:11], v[96:97], v[30:31]
	v_fmac_f64_e32 v[30:31], s[2:3], v[96:97]
	v_add_f64 v[60:61], v[60:61], -v[34:35]
	v_add_f64 v[6:7], v[6:7], v[54:55]
	v_fmac_f64_e32 v[44:45], s[16:17], v[46:47]
	v_fma_f64 v[46:47], s[10:11], v[98:99], v[90:91]
	v_fma_f64 v[54:55], s[2:3], v[104:105], v[92:93]
	v_fmac_f64_e32 v[30:31], s[12:13], v[104:105]
	v_add_f64 v[58:59], v[112:113], v[6:7]
	v_add_f64 v[6:7], v[112:113], -v[6:7]
	v_add_f64 v[112:113], v[60:61], v[122:123]
	v_fmac_f64_e32 v[46:47], s[12:13], v[94:95]
	v_fmac_f64_e32 v[54:55], s[6:7], v[96:97]
	;; [unrolled: 1-line block ×6, first 2 shown]
	v_add_f64 v[50:51], v[30:31], v[10:11]
	v_add_f64 v[10:11], v[30:31], -v[10:11]
	ds_read_b128 v[28:31], v118 offset:10656
	ds_read_b128 v[32:35], v118 offset:15264
	;; [unrolled: 1-line block ×4, first 2 shown]
	v_add_f64 v[60:61], v[46:47], v[52:53]
	v_add_f64 v[62:63], v[54:55], v[44:45]
	v_add_f64 v[52:53], v[46:47], -v[52:53]
	v_add_f64 v[54:55], v[54:55], -v[44:45]
	ds_read_b128 v[44:47], v118 offset:19872
	v_fmac_f64_e32 v[84:85], s[12:13], v[80:81]
	v_fmac_f64_e32 v[88:89], s[8:9], v[86:87]
	v_fmac_f64_e32 v[68:69], s[10:11], v[82:83]
	v_fmac_f64_e32 v[100:101], s[12:13], v[98:99]
	v_fmac_f64_e32 v[84:85], s[8:9], v[70:71]
	v_mul_f64 v[70:71], v[88:89], s[10:11]
	v_fmac_f64_e32 v[64:65], s[2:3], v[80:81]
	v_fmac_f64_e32 v[68:69], s[12:13], v[78:79]
	;; [unrolled: 1-line block ×4, first 2 shown]
	v_mul_f64 v[88:89], v[88:89], s[8:9]
	v_fmac_f64_e32 v[90:91], s[2:3], v[98:99]
	v_fmac_f64_e32 v[92:93], s[10:11], v[104:105]
	;; [unrolled: 1-line block ×4, first 2 shown]
	s_mov_b32 s19, 0xbfe9e377
	s_mov_b32 s18, s16
	v_fmac_f64_e32 v[106:107], s[6:7], v[104:105]
	v_fmac_f64_e32 v[88:89], s[2:3], v[84:85]
	v_add_f64 v[84:85], v[100:101], v[70:71]
	v_add_f64 v[100:101], v[100:101], -v[70:71]
	v_fmac_f64_e32 v[90:91], s[6:7], v[94:95]
	v_fmac_f64_e32 v[92:93], s[12:13], v[96:97]
	;; [unrolled: 1-line block ×3, first 2 shown]
	v_mul_f64 v[70:71], v[68:69], s[12:13]
	v_mul_f64 v[68:69], v[68:69], s[18:19]
	s_movk_i32 s20, 0x90
	v_fmac_f64_e32 v[106:107], s[8:9], v[108:109]
	v_fmac_f64_e32 v[90:91], s[8:9], v[110:111]
	;; [unrolled: 1-line block ×5, first 2 shown]
	v_mad_u32_u24 v73, v72, s20, v118
	v_add_f64 v[86:87], v[106:107], v[88:89]
	v_add_f64 v[64:65], v[90:91], v[70:71]
	;; [unrolled: 1-line block ×3, first 2 shown]
	s_waitcnt lgkmcnt(0)
	s_barrier
	ds_write_b128 v73, v[56:59]
	ds_write_b128 v73, v[60:63] offset:16
	ds_write_b128 v73, v[84:87] offset:32
	ds_write_b128 v73, v[48:51] offset:48
	ds_write_b128 v73, v[64:67] offset:64
	ds_write_b128 v73, v[4:7] offset:80
	ds_write_b128 v73, v[52:55] offset:96
	v_add_f64 v[4:5], v[40:41], -v[28:29]
	v_add_f64 v[6:7], v[44:45], -v[32:33]
	v_add_f64 v[62:63], v[4:5], v[6:7]
	v_add_f64 v[4:5], v[28:29], -v[40:41]
	v_add_f64 v[6:7], v[32:33], -v[44:45]
	v_add_f64 v[64:65], v[4:5], v[6:7]
	;; [unrolled: 3-line block ×3, first 2 shown]
	v_add_f64 v[4:5], v[30:31], -v[42:43]
	v_add_f64 v[6:7], v[34:35], -v[46:47]
	;; [unrolled: 1-line block ×5, first 2 shown]
	v_add_f64 v[68:69], v[4:5], v[6:7]
	v_add_f64 v[4:5], v[12:13], -v[16:17]
	v_add_f64 v[6:7], v[24:25], -v[20:21]
	v_add_f64 v[78:79], v[4:5], v[6:7]
	v_add_f64 v[4:5], v[16:17], -v[12:13]
	v_add_f64 v[6:7], v[20:21], -v[24:25]
	;; [unrolled: 3-line block ×4, first 2 shown]
	ds_write_b128 v73, v[88:91] offset:144
	v_add_f64 v[88:89], v[4:5], v[6:7]
	v_add_f64 v[4:5], v[16:17], v[20:21]
	v_fma_f64 v[104:105], -0.5, v[4:5], v[0:1]
	v_add_f64 v[96:97], v[14:15], -v[26:27]
	v_add_f64 v[6:7], v[18:19], v[22:23]
	ds_write_b128 v73, v[100:103] offset:112
	v_fma_f64 v[4:5], s[10:11], v[96:97], v[104:105]
	v_add_f64 v[102:103], v[18:19], -v[22:23]
	v_fma_f64 v[98:99], -0.5, v[6:7], v[2:3]
	v_add_f64 v[94:95], v[12:13], -v[24:25]
	v_fmac_f64_e32 v[4:5], s[12:13], v[102:103]
	v_fma_f64 v[6:7], s[2:3], v[94:95], v[98:99]
	v_add_f64 v[100:101], v[16:17], -v[20:21]
	v_fmac_f64_e32 v[4:5], s[8:9], v[78:79]
	v_fmac_f64_e32 v[6:7], s[6:7], v[100:101]
	v_fmac_f64_e32 v[6:7], s[8:9], v[86:87]
	v_mul_f64 v[52:53], v[4:5], s[6:7]
	v_mul_f64 v[48:49], v[6:7], s[12:13]
	v_fmac_f64_e32 v[52:53], s[16:17], v[6:7]
	v_add_f64 v[6:7], v[14:15], v[26:27]
	v_fmac_f64_e32 v[48:49], s[16:17], v[4:5]
	v_add_f64 v[4:5], v[12:13], v[24:25]
	v_fma_f64 v[92:93], -0.5, v[6:7], v[2:3]
	v_fma_f64 v[90:91], -0.5, v[4:5], v[0:1]
	v_fma_f64 v[6:7], s[10:11], v[100:101], v[92:93]
	v_fma_f64 v[4:5], s[2:3], v[102:103], v[90:91]
	v_fmac_f64_e32 v[6:7], s[6:7], v[94:95]
	v_fmac_f64_e32 v[4:5], s[12:13], v[96:97]
	;; [unrolled: 1-line block ×4, first 2 shown]
	v_mul_f64 v[50:51], v[6:7], s[10:11]
	v_mul_f64 v[58:59], v[6:7], s[8:9]
	v_fmac_f64_e32 v[50:51], s[8:9], v[4:5]
	v_fmac_f64_e32 v[58:59], s[2:3], v[4:5]
	v_add_f64 v[4:5], v[28:29], v[32:33]
	v_fma_f64 v[82:83], -0.5, v[4:5], v[36:37]
	v_add_f64 v[4:5], v[40:41], v[44:45]
	v_fma_f64 v[70:71], -0.5, v[4:5], v[36:37]
	;; [unrolled: 2-line block ×3, first 2 shown]
	v_add_f64 v[4:5], v[42:43], v[46:47]
	v_add_f64 v[108:109], v[42:43], -v[46:47]
	v_add_f64 v[110:111], v[30:31], -v[34:35]
	;; [unrolled: 1-line block ×4, first 2 shown]
	v_fma_f64 v[106:107], -0.5, v[4:5], v[38:39]
	v_fma_f64 v[54:55], s[10:11], v[108:109], v[82:83]
	v_fma_f64 v[56:57], s[2:3], v[110:111], v[70:71]
	;; [unrolled: 1-line block ×4, first 2 shown]
	v_fmac_f64_e32 v[54:55], s[12:13], v[110:111]
	v_fmac_f64_e32 v[56:57], s[12:13], v[108:109]
	v_fmac_f64_e32 v[60:61], s[6:7], v[114:115]
	v_fmac_f64_e32 v[66:67], s[6:7], v[112:113]
	v_fmac_f64_e32 v[54:55], s[8:9], v[62:63]
	v_fmac_f64_e32 v[56:57], s[8:9], v[64:65]
	v_fmac_f64_e32 v[60:61], s[8:9], v[84:85]
	v_fmac_f64_e32 v[66:67], s[8:9], v[68:69]
	ds_write_b128 v73, v[8:11] offset:128
	v_add_f64 v[4:5], v[54:55], -v[48:49]
	v_add_f64 v[6:7], v[60:61], -v[52:53]
	;; [unrolled: 1-line block ×4, first 2 shown]
	v_cmp_gt_u32_e32 vcc, 54, v72
	s_and_saveexec_b64 s[10:11], vcc
	s_cbranch_execz .LBB0_15
; %bb.14:
	v_mul_f64 v[120:121], v[112:113], s[2:3]
	v_add_f64 v[116:117], v[116:117], -v[120:121]
	v_mul_f64 v[120:121], v[114:115], s[6:7]
	v_add_f64 v[116:117], v[116:117], -v[120:121]
	v_mul_f64 v[84:85], v[84:85], s[8:9]
	v_add_f64 v[84:85], v[84:85], v[116:117]
	v_mul_f64 v[116:117], v[96:97], s[2:3]
	v_add_f64 v[104:105], v[104:105], v[116:117]
	;; [unrolled: 2-line block ×4, first 2 shown]
	v_mul_f64 v[104:105], v[94:95], s[2:3]
	v_mul_f64 v[120:121], v[108:109], s[2:3]
	;; [unrolled: 1-line block ×3, first 2 shown]
	v_add_f64 v[98:99], v[98:99], -v[104:105]
	v_mul_f64 v[104:105], v[100:101], s[6:7]
	v_mul_f64 v[116:117], v[110:111], s[6:7]
	;; [unrolled: 1-line block ×4, first 2 shown]
	v_add_f64 v[98:99], v[98:99], -v[104:105]
	v_add_f64 v[90:91], v[90:91], -v[102:103]
	v_add_f64 v[2:3], v[2:3], v[14:15]
	v_add_f64 v[14:15], v[82:83], v[120:121]
	v_mul_f64 v[62:63], v[62:63], s[8:9]
	v_mul_f64 v[80:81], v[80:81], s[8:9]
	;; [unrolled: 1-line block ×3, first 2 shown]
	v_add_f64 v[86:87], v[86:87], v[98:99]
	v_add_f64 v[90:91], v[96:97], v[90:91]
	;; [unrolled: 1-line block ×4, first 2 shown]
	v_mul_f64 v[110:111], v[110:111], s[2:3]
	v_mul_f64 v[94:95], v[94:95], s[6:7]
	v_add_f64 v[90:91], v[80:81], v[90:91]
	v_add_f64 v[80:81], v[100:101], v[92:93]
	;; [unrolled: 1-line block ×4, first 2 shown]
	v_mul_f64 v[14:15], v[86:87], s[6:7]
	v_mul_f64 v[108:109], v[108:109], s[6:7]
	;; [unrolled: 1-line block ×3, first 2 shown]
	v_add_f64 v[80:81], v[80:81], -v[94:95]
	v_fma_f64 v[42:43], v[78:79], s[18:19], -v[14:15]
	v_add_f64 v[14:15], v[70:71], -v[110:111]
	v_mul_f64 v[122:123], v[64:65], s[8:9]
	v_add_f64 v[88:89], v[88:89], v[80:81]
	v_add_f64 v[30:31], v[30:31], v[34:35]
	;; [unrolled: 1-line block ×5, first 2 shown]
	v_mul_f64 v[14:15], v[88:89], s[2:3]
	v_fma_f64 v[70:71], v[90:91], s[14:15], -v[14:15]
	v_add_f64 v[14:15], v[36:37], v[40:41]
	v_add_f64 v[0:1], v[0:1], v[12:13]
	;; [unrolled: 1-line block ×4, first 2 shown]
	v_mul_f64 v[64:65], v[114:115], s[2:3]
	v_add_f64 v[2:3], v[2:3], v[18:19]
	v_add_f64 v[14:15], v[14:15], v[32:33]
	;; [unrolled: 1-line block ×3, first 2 shown]
	v_mul_f64 v[112:113], v[112:113], s[6:7]
	v_add_f64 v[104:105], v[64:65], v[106:107]
	v_add_f64 v[2:3], v[2:3], v[22:23]
	;; [unrolled: 1-line block ×4, first 2 shown]
	v_mul_f64 v[68:69], v[68:69], s[8:9]
	v_mul_f64 v[98:99], v[86:87], s[18:19]
	v_add_f64 v[104:105], v[104:105], -v[112:113]
	v_mul_f64 v[92:93], v[88:89], s[14:15]
	v_add_f64 v[34:35], v[2:3], v[26:27]
	v_add_f64 v[0:1], v[28:29], -v[32:33]
	v_add_f64 v[28:29], v[28:29], v[32:33]
	v_mul_i32_i24_e32 v32, 10, v76
	v_fmac_f64_e32 v[98:99], s[6:7], v[78:79]
	v_add_f64 v[68:69], v[68:69], v[104:105]
	v_fmac_f64_e32 v[92:93], s[2:3], v[90:91]
	v_add_f64 v[2:3], v[30:31], -v[34:35]
	v_add_f64 v[30:31], v[30:31], v[34:35]
	v_lshl_add_u32 v32, v32, 4, 0
	v_add_f64 v[64:65], v[84:85], -v[98:99]
	v_add_f64 v[80:81], v[68:69], -v[92:93]
	;; [unrolled: 1-line block ×4, first 2 shown]
	v_add_f64 v[14:15], v[84:85], v[98:99]
	v_add_f64 v[18:19], v[68:69], v[92:93]
	;; [unrolled: 1-line block ×8, first 2 shown]
	ds_write_b128 v32, v[28:31]
	ds_write_b128 v32, v[24:27] offset:16
	ds_write_b128 v32, v[20:23] offset:32
	;; [unrolled: 1-line block ×9, first 2 shown]
.LBB0_15:
	s_or_b64 exec, exec, s[10:11]
	s_movk_i32 s2, 0xcd
	v_mul_lo_u16_sdwa v0, v72, s2 dst_sel:DWORD dst_unused:UNUSED_PAD src0_sel:BYTE_0 src1_sel:DWORD
	v_lshrrev_b16_e32 v12, 11, v0
	v_mul_lo_u16_e32 v0, 10, v12
	v_sub_u16_e32 v13, v72, v0
	v_mov_b32_e32 v0, 15
	v_mul_u32_u24_sdwa v0, v13, v0 dst_sel:DWORD dst_unused:UNUSED_PAD src0_sel:BYTE_0 src1_sel:DWORD
	v_lshlrev_b32_e32 v14, 4, v0
	s_waitcnt lgkmcnt(0)
	s_barrier
	global_load_dwordx4 v[0:3], v14, s[4:5]
	global_load_dwordx4 v[16:19], v14, s[4:5] offset:16
	global_load_dwordx4 v[20:23], v14, s[4:5] offset:32
	;; [unrolled: 1-line block ×14, first 2 shown]
	v_lshl_add_u32 v80, v76, 4, 0
	s_movk_i32 s2, 0xff70
	ds_read_b128 v[82:85], v118
	ds_read_b128 v[86:89], v118 offset:8640
	ds_read_b128 v[90:93], v118 offset:10080
	;; [unrolled: 1-line block ×5, first 2 shown]
	ds_read_b128 v[106:109], v80
	ds_read_b128 v[110:113], v118 offset:15840
	ds_read_b128 v[114:117], v118 offset:17280
	v_mad_i32_i24 v14, v72, s2, v73
	ds_read_b128 v[120:123], v14 offset:2880
	s_mov_b32 s2, 0x667f3bcd
	s_mov_b32 s3, 0xbfe6a09e
	;; [unrolled: 1-line block ×12, first 2 shown]
	v_mul_u32_u24_e32 v12, 0xa0, v12
	v_or_b32_sdwa v12, v12, v13 dst_sel:DWORD dst_unused:UNUSED_PAD src0_sel:DWORD src1_sel:BYTE_0
	v_lshl_add_u32 v12, v12, 4, 0
	v_mul_i32_i24_e32 v77, 0xffffff70, v72
	v_cmp_gt_u32_e32 vcc, 30, v72
	v_add_u32_e32 v81, v73, v77
	s_waitcnt vmcnt(14) lgkmcnt(3)
	v_mul_f64 v[78:79], v[108:109], v[2:3]
	v_mul_f64 v[2:3], v[106:107], v[2:3]
	v_fmac_f64_e32 v[78:79], v[106:107], v[0:1]
	v_fma_f64 v[106:107], v[108:109], v[0:1], -v[2:3]
	ds_read_b128 v[0:3], v14 offset:4320
	s_waitcnt vmcnt(13) lgkmcnt(1)
	v_mul_f64 v[108:109], v[122:123], v[18:19]
	v_mul_f64 v[18:19], v[120:121], v[18:19]
	v_fmac_f64_e32 v[108:109], v[120:121], v[16:17]
	v_fma_f64 v[120:121], v[122:123], v[16:17], -v[18:19]
	ds_read_b128 v[16:19], v14 offset:5760
	s_waitcnt vmcnt(12) lgkmcnt(1)
	v_mul_f64 v[122:123], v[2:3], v[22:23]
	v_mul_f64 v[22:23], v[0:1], v[22:23]
	v_fmac_f64_e32 v[122:123], v[0:1], v[20:21]
	v_fma_f64 v[124:125], v[2:3], v[20:21], -v[22:23]
	ds_read_b128 v[0:3], v14 offset:7200
	s_waitcnt vmcnt(11) lgkmcnt(1)
	v_mul_f64 v[126:127], v[18:19], v[26:27]
	v_mul_f64 v[20:21], v[16:17], v[26:27]
	v_fmac_f64_e32 v[126:127], v[16:17], v[24:25]
	v_fma_f64 v[24:25], v[18:19], v[24:25], -v[20:21]
	ds_read_b128 v[16:19], v118 offset:18720
	s_waitcnt vmcnt(10) lgkmcnt(1)
	v_mul_f64 v[26:27], v[2:3], v[30:31]
	v_mul_f64 v[20:21], v[0:1], v[30:31]
	v_fmac_f64_e32 v[26:27], v[0:1], v[28:29]
	v_fma_f64 v[28:29], v[2:3], v[28:29], -v[20:21]
	ds_read_b128 v[0:3], v118 offset:20160
	s_waitcnt vmcnt(9)
	v_mul_f64 v[30:31], v[88:89], v[34:35]
	v_mul_f64 v[20:21], v[86:87], v[34:35]
	s_waitcnt vmcnt(8)
	v_mul_f64 v[34:35], v[92:93], v[38:39]
	v_mul_f64 v[38:39], v[90:91], v[38:39]
	v_fmac_f64_e32 v[30:31], v[86:87], v[32:33]
	s_waitcnt vmcnt(7)
	v_mul_f64 v[86:87], v[96:97], v[42:43]
	v_fmac_f64_e32 v[34:35], v[90:91], v[36:37]
	v_fma_f64 v[36:37], v[92:93], v[36:37], -v[38:39]
	v_mul_f64 v[38:39], v[94:95], v[42:43]
	v_fma_f64 v[32:33], v[88:89], v[32:33], -v[20:21]
	ds_read_b128 v[20:23], v118 offset:21600
	s_waitcnt vmcnt(6)
	v_mul_f64 v[42:43], v[100:101], v[46:47]
	v_mul_f64 v[46:47], v[98:99], v[46:47]
	s_waitcnt vmcnt(5)
	v_mul_f64 v[88:89], v[104:105], v[50:51]
	v_fmac_f64_e32 v[86:87], v[94:95], v[40:41]
	v_fma_f64 v[38:39], v[96:97], v[40:41], -v[38:39]
	v_mul_f64 v[40:41], v[102:103], v[50:51]
	s_waitcnt vmcnt(4)
	v_mul_f64 v[50:51], v[112:113], v[54:55]
	v_mul_f64 v[54:55], v[110:111], v[54:55]
	v_fmac_f64_e32 v[42:43], v[98:99], v[44:45]
	v_fma_f64 v[44:45], v[100:101], v[44:45], -v[46:47]
	v_fma_f64 v[46:47], v[112:113], v[52:53], -v[54:55]
	s_waitcnt vmcnt(2) lgkmcnt(2)
	v_mul_f64 v[54:55], v[18:19], v[62:63]
	v_fmac_f64_e32 v[54:55], v[16:17], v[60:61]
	v_mul_f64 v[16:17], v[16:17], v[62:63]
	v_fma_f64 v[16:17], v[18:19], v[60:61], -v[16:17]
	s_waitcnt vmcnt(1) lgkmcnt(1)
	v_mul_f64 v[18:19], v[2:3], v[66:67]
	v_fmac_f64_e32 v[18:19], v[0:1], v[64:65]
	v_mul_f64 v[0:1], v[0:1], v[66:67]
	v_fmac_f64_e32 v[50:51], v[110:111], v[52:53]
	v_mul_f64 v[52:53], v[114:115], v[58:59]
	v_fma_f64 v[0:1], v[2:3], v[64:65], -v[0:1]
	s_waitcnt vmcnt(0) lgkmcnt(0)
	v_mul_f64 v[2:3], v[22:23], v[70:71]
	v_fmac_f64_e32 v[88:89], v[102:103], v[48:49]
	v_fma_f64 v[40:41], v[104:105], v[48:49], -v[40:41]
	v_mul_f64 v[48:49], v[116:117], v[58:59]
	v_fma_f64 v[52:53], v[116:117], v[56:57], -v[52:53]
	v_fmac_f64_e32 v[2:3], v[20:21], v[68:69]
	v_mul_f64 v[20:21], v[20:21], v[70:71]
	v_fmac_f64_e32 v[48:49], v[114:115], v[56:57]
	v_fma_f64 v[20:21], v[22:23], v[68:69], -v[20:21]
	v_add_f64 v[22:23], v[82:83], -v[86:87]
	v_add_f64 v[52:53], v[24:25], -v[52:53]
	v_add_f64 v[62:63], v[108:109], -v[88:89]
	v_add_f64 v[0:1], v[32:33], -v[0:1]
	v_add_f64 v[42:43], v[78:79], -v[42:43]
	v_add_f64 v[54:55], v[26:27], -v[54:55]
	v_add_f64 v[50:51], v[122:123], -v[50:51]
	v_add_f64 v[2:3], v[34:35], -v[2:3]
	v_add_f64 v[38:39], v[84:85], -v[38:39]
	v_add_f64 v[48:49], v[126:127], -v[48:49]
	v_fma_f64 v[24:25], v[24:25], 2.0, -v[52:53]
	v_add_f64 v[40:41], v[120:121], -v[40:41]
	v_add_f64 v[18:19], v[30:31], -v[18:19]
	v_fma_f64 v[32:33], v[32:33], 2.0, -v[0:1]
	v_add_f64 v[44:45], v[106:107], -v[44:45]
	v_fma_f64 v[68:69], v[78:79], 2.0, -v[42:43]
	;; [unrolled: 2-line block ×5, first 2 shown]
	v_add_f64 v[52:53], v[22:23], v[52:53]
	v_add_f64 v[0:1], v[62:63], v[0:1]
	v_fma_f64 v[56:57], v[82:83], 2.0, -v[22:23]
	v_fma_f64 v[60:61], v[126:127], 2.0, -v[48:49]
	;; [unrolled: 1-line block ×7, first 2 shown]
	v_add_f64 v[48:49], v[38:39], -v[48:49]
	v_add_f64 v[18:19], v[40:41], -v[18:19]
	;; [unrolled: 1-line block ×4, first 2 shown]
	v_fma_f64 v[92:93], s[6:7], v[0:1], v[52:53]
	v_fma_f64 v[64:65], v[108:109], 2.0, -v[62:63]
	v_fma_f64 v[22:23], v[22:23], 2.0, -v[52:53]
	;; [unrolled: 1-line block ×3, first 2 shown]
	v_add_f64 v[28:29], v[70:71], -v[28:29]
	v_fma_f64 v[68:69], v[68:69], 2.0, -v[26:27]
	v_add_f64 v[16:17], v[42:43], v[16:17]
	v_add_f64 v[36:37], v[82:83], -v[36:37]
	v_fma_f64 v[78:79], v[78:79], 2.0, -v[34:35]
	v_add_f64 v[20:21], v[50:51], v[20:21]
	v_fma_f64 v[94:95], s[6:7], v[18:19], v[48:49]
	v_fmac_f64_e32 v[92:93], s[6:7], v[18:19]
	v_fma_f64 v[58:59], v[84:85], 2.0, -v[38:39]
	v_fma_f64 v[66:67], v[120:121], 2.0, -v[40:41]
	v_fma_f64 v[40:41], v[40:41], 2.0, -v[18:19]
	v_fma_f64 v[70:71], v[70:71], 2.0, -v[28:29]
	v_add_f64 v[54:55], v[44:45], -v[54:55]
	v_fma_f64 v[42:43], v[42:43], 2.0, -v[16:17]
	v_fma_f64 v[82:83], v[82:83], 2.0, -v[36:37]
	v_add_f64 v[2:3], v[46:47], -v[2:3]
	v_fma_f64 v[50:51], v[50:51], 2.0, -v[20:21]
	v_fma_f64 v[84:85], s[2:3], v[62:63], v[22:23]
	v_fmac_f64_e32 v[94:95], s[2:3], v[0:1]
	v_fma_f64 v[0:1], v[52:53], 2.0, -v[92:93]
	v_add_f64 v[52:53], v[68:69], -v[78:79]
	v_fma_f64 v[38:39], v[38:39], 2.0, -v[48:49]
	v_fma_f64 v[44:45], v[44:45], 2.0, -v[54:55]
	;; [unrolled: 1-line block ×3, first 2 shown]
	v_fmac_f64_e32 v[84:85], s[6:7], v[40:41]
	v_add_f64 v[78:79], v[70:71], -v[82:83]
	v_fma_f64 v[18:19], v[68:69], 2.0, -v[52:53]
	v_fma_f64 v[68:69], s[2:3], v[50:51], v[42:43]
	v_add_f64 v[60:61], v[56:57], -v[60:61]
	v_add_f64 v[24:25], v[58:59], -v[24:25]
	;; [unrolled: 1-line block ×4, first 2 shown]
	v_fma_f64 v[86:87], s[2:3], v[40:41], v[38:39]
	v_fma_f64 v[40:41], v[22:23], 2.0, -v[84:85]
	v_fma_f64 v[22:23], v[70:71], 2.0, -v[78:79]
	v_fma_f64 v[70:71], s[2:3], v[46:47], v[44:45]
	v_fmac_f64_e32 v[68:69], s[6:7], v[46:47]
	v_fma_f64 v[64:65], v[64:65], 2.0, -v[30:31]
	v_fmac_f64_e32 v[86:87], s[2:3], v[62:63]
	v_add_f64 v[88:89], v[60:61], v[32:33]
	v_add_f64 v[90:91], v[24:25], -v[30:31]
	v_fmac_f64_e32 v[70:71], s[2:3], v[50:51]
	v_fma_f64 v[30:31], v[42:43], 2.0, -v[68:69]
	v_add_f64 v[82:83], v[26:27], v[36:37]
	v_fma_f64 v[100:101], s[6:7], v[2:3], v[54:55]
	v_fma_f64 v[56:57], v[56:57], 2.0, -v[60:61]
	v_fma_f64 v[58:59], v[58:59], 2.0, -v[24:25]
	;; [unrolled: 1-line block ×7, first 2 shown]
	v_add_f64 v[96:97], v[28:29], -v[34:35]
	v_fma_f64 v[36:37], v[26:27], 2.0, -v[82:83]
	v_fma_f64 v[98:99], s[6:7], v[20:21], v[16:17]
	v_fmac_f64_e32 v[100:101], s[2:3], v[20:21]
	v_fma_f64 v[24:25], s[10:11], v[30:31], v[40:41]
	v_fma_f64 v[48:49], v[48:49], 2.0, -v[94:95]
	v_fma_f64 v[42:43], v[28:29], 2.0, -v[96:97]
	v_fmac_f64_e32 v[98:99], s[6:7], v[2:3]
	v_fma_f64 v[44:45], v[54:55], 2.0, -v[100:101]
	v_fma_f64 v[26:27], s[10:11], v[32:33], v[38:39]
	v_fmac_f64_e32 v[24:25], s[8:9], v[32:33]
	v_fma_f64 v[32:33], s[2:3], v[36:37], v[60:61]
	v_add_f64 v[64:65], v[56:57], -v[64:65]
	v_add_f64 v[66:67], v[58:59], -v[66:67]
	v_fma_f64 v[2:3], v[16:17], 2.0, -v[98:99]
	v_fma_f64 v[34:35], s[2:3], v[42:43], v[62:63]
	v_fmac_f64_e32 v[32:33], s[6:7], v[42:43]
	v_fma_f64 v[42:43], s[12:13], v[44:45], v[48:49]
	v_fma_f64 v[56:57], v[56:57], 2.0, -v[64:65]
	v_fma_f64 v[58:59], v[58:59], 2.0, -v[66:67]
	v_fmac_f64_e32 v[42:43], s[10:11], v[2:3]
	v_add_f64 v[16:17], v[56:57], -v[18:19]
	v_add_f64 v[18:19], v[58:59], -v[22:23]
	v_fma_f64 v[28:29], v[40:41], 2.0, -v[24:25]
	v_fma_f64 v[40:41], s[12:13], v[2:3], v[0:1]
	v_fma_f64 v[46:47], v[48:49], 2.0, -v[42:43]
	v_add_f64 v[48:49], v[64:65], v[78:79]
	v_add_f64 v[50:51], v[66:67], -v[52:53]
	v_fma_f64 v[20:21], v[56:57], 2.0, -v[16:17]
	v_fma_f64 v[22:23], v[58:59], 2.0, -v[18:19]
	v_fmac_f64_e32 v[40:41], s[14:15], v[44:45]
	v_fma_f64 v[52:53], v[64:65], 2.0, -v[48:49]
	v_fma_f64 v[54:55], v[66:67], 2.0, -v[50:51]
	v_fma_f64 v[56:57], s[8:9], v[68:69], v[84:85]
	v_fma_f64 v[58:59], s[8:9], v[70:71], v[86:87]
	;; [unrolled: 1-line block ×4, first 2 shown]
	v_fmac_f64_e32 v[26:27], s[12:13], v[30:31]
	v_fmac_f64_e32 v[34:35], s[2:3], v[36:37]
	v_fma_f64 v[44:45], v[0:1], 2.0, -v[40:41]
	v_fmac_f64_e32 v[56:57], s[14:15], v[70:71]
	v_fmac_f64_e32 v[58:59], s[10:11], v[68:69]
	;; [unrolled: 1-line block ×4, first 2 shown]
	v_fma_f64 v[0:1], s[14:15], v[98:99], v[92:93]
	v_fma_f64 v[2:3], s[14:15], v[100:101], v[94:95]
	v_fma_f64 v[30:31], v[38:39], 2.0, -v[26:27]
	v_fma_f64 v[36:37], v[60:61], 2.0, -v[32:33]
	;; [unrolled: 1-line block ×7, first 2 shown]
	v_fmac_f64_e32 v[0:1], s[8:9], v[100:101]
	v_fmac_f64_e32 v[2:3], s[12:13], v[98:99]
	v_fma_f64 v[82:83], v[92:93], 2.0, -v[0:1]
	v_fma_f64 v[84:85], v[94:95], 2.0, -v[2:3]
	s_barrier
	ds_write_b128 v12, v[20:23]
	ds_write_b128 v12, v[28:31] offset:160
	ds_write_b128 v12, v[36:39] offset:320
	;; [unrolled: 1-line block ×15, first 2 shown]
	s_waitcnt lgkmcnt(0)
	s_barrier
	ds_read_b128 v[28:31], v118
	ds_read_b128 v[68:71], v118 offset:7680
	ds_read_b128 v[64:67], v118 offset:15360
	;; [unrolled: 1-line block ×3, first 2 shown]
	ds_read_b128 v[24:27], v80
	ds_read_b128 v[20:23], v14 offset:2880
	ds_read_b128 v[52:55], v118 offset:9120
	;; [unrolled: 1-line block ×10, first 2 shown]
	s_and_saveexec_b64 s[2:3], vcc
	s_cbranch_execz .LBB0_17
; %bb.16:
	ds_read_b128 v[0:3], v81 offset:7200
	ds_read_b128 v[4:7], v118 offset:14880
	ds_read_b128 v[8:11], v118 offset:22560
.LBB0_17:
	s_or_b64 exec, exec, s[2:3]
	v_lshlrev_b32_e32 v82, 1, v72
	v_mov_b32_e32 v83, 0
	v_lshl_add_u64 v[78:79], v[82:83], 4, s[4:5]
	global_load_dwordx4 v[84:87], v[78:79], off offset:2400
	global_load_dwordx4 v[88:91], v[78:79], off offset:2416
	v_add_u32_e32 v82, 40, v82
	v_lshl_add_u64 v[100:101], v[82:83], 4, s[4:5]
	global_load_dwordx4 v[92:95], v[100:101], off offset:2400
	global_load_dwordx4 v[96:99], v[100:101], off offset:2416
	s_movk_i32 s2, 0x46
	v_add_u32_e32 v82, 0x10e, v72
	s_mov_b32 s6, 0xcccd
	v_add_u32_e32 v100, 0xffffffba, v72
	v_add_u32_e32 v77, 0x168, v72
	v_mov_b32_e32 v101, v83
	v_cmp_gt_u32_e64 s[2:3], s2, v72
	v_mul_u32_u24_sdwa v83, v82, s6 dst_sel:DWORD dst_unused:UNUSED_PAD src0_sel:WORD_0 src1_sel:DWORD
	v_add_u32_e32 v73, 0x1c2, v72
	v_cndmask_b32_e64 v119, v100, v76, s[2:3]
	v_mul_u32_u24_sdwa v102, v77, s6 dst_sel:DWORD dst_unused:UNUSED_PAD src0_sel:WORD_0 src1_sel:DWORD
	v_lshrrev_b32_e32 v122, 23, v83
	v_mul_u32_u24_sdwa v103, v73, s6 dst_sel:DWORD dst_unused:UNUSED_PAD src0_sel:WORD_0 src1_sel:DWORD
	v_lshlrev_b32_e32 v100, 1, v119
	v_lshrrev_b32_e32 v83, 23, v102
	v_mul_lo_u16_e32 v110, 0xa0, v122
	v_lshrrev_b32_e32 v102, 23, v103
	v_lshl_add_u64 v[108:109], v[100:101], 4, s[4:5]
	v_mul_lo_u16_e32 v83, 0xa0, v83
	v_sub_u16_e32 v123, v82, v110
	v_mul_lo_u16_e32 v111, 0xa0, v102
	global_load_dwordx4 v[100:103], v[108:109], off offset:2400
	global_load_dwordx4 v[104:107], v[108:109], off offset:2416
	v_sub_u16_e32 v124, v77, v83
	v_lshlrev_b32_e32 v112, 5, v123
	v_sub_u16_e32 v83, v73, v111
	v_lshlrev_b32_e32 v116, 5, v124
	v_lshlrev_b32_e32 v120, 5, v83
	s_mov_b32 s2, 0xe8584caa
	s_mov_b32 s3, 0xbfebb67a
	;; [unrolled: 1-line block ×4, first 2 shown]
	s_waitcnt vmcnt(5) lgkmcnt(13)
	v_mul_f64 v[108:109], v[70:71], v[86:87]
	v_mul_f64 v[86:87], v[68:69], v[86:87]
	v_fmac_f64_e32 v[108:109], v[68:69], v[84:85]
	v_fma_f64 v[110:111], v[70:71], v[84:85], -v[86:87]
	global_load_dwordx4 v[68:71], v112, s[4:5] offset:2416
	global_load_dwordx4 v[84:87], v112, s[4:5] offset:2400
	s_waitcnt vmcnt(6) lgkmcnt(12)
	v_mul_f64 v[112:113], v[66:67], v[90:91]
	v_mul_f64 v[90:91], v[64:65], v[90:91]
	v_fmac_f64_e32 v[112:113], v[64:65], v[88:89]
	v_fma_f64 v[114:115], v[66:67], v[88:89], -v[90:91]
	global_load_dwordx4 v[64:67], v116, s[4:5] offset:2416
	global_load_dwordx4 v[88:91], v116, s[4:5] offset:2400
	s_waitcnt vmcnt(7) lgkmcnt(7)
	v_mul_f64 v[116:117], v[62:63], v[94:95]
	v_mul_f64 v[94:95], v[60:61], v[94:95]
	v_fmac_f64_e32 v[116:117], v[60:61], v[92:93]
	v_fma_f64 v[92:93], v[62:63], v[92:93], -v[94:95]
	s_waitcnt vmcnt(6) lgkmcnt(6)
	v_mul_f64 v[94:95], v[58:59], v[98:99]
	global_load_dwordx4 v[60:63], v120, s[4:5] offset:2400
	v_mul_f64 v[98:99], v[56:57], v[98:99]
	v_fmac_f64_e32 v[94:95], v[56:57], v[96:97]
	v_fma_f64 v[96:97], v[58:59], v[96:97], -v[98:99]
	global_load_dwordx4 v[56:59], v120, s[4:5] offset:2416
	s_waitcnt lgkmcnt(0)
	s_barrier
	s_waitcnt vmcnt(7)
	v_mul_f64 v[98:99], v[54:55], v[102:103]
	v_mul_f64 v[102:103], v[52:53], v[102:103]
	v_fmac_f64_e32 v[98:99], v[52:53], v[100:101]
	v_fma_f64 v[52:53], v[54:55], v[100:101], -v[102:103]
	s_waitcnt vmcnt(6)
	v_mul_f64 v[54:55], v[50:51], v[106:107]
	v_mul_f64 v[100:101], v[48:49], v[106:107]
	v_fmac_f64_e32 v[54:55], v[48:49], v[104:105]
	v_fma_f64 v[48:49], v[50:51], v[104:105], -v[100:101]
	;; [unrolled: 5-line block ×3, first 2 shown]
	v_mul_f64 v[86:87], v[34:35], v[70:71]
	v_mul_f64 v[70:71], v[32:33], v[70:71]
	v_fmac_f64_e32 v[86:87], v[32:33], v[68:69]
	s_waitcnt vmcnt(3)
	v_mul_f64 v[104:105], v[38:39], v[66:67]
	v_mul_f64 v[44:45], v[36:37], v[66:67]
	v_fmac_f64_e32 v[104:105], v[36:37], v[64:65]
	s_waitcnt vmcnt(2)
	v_mul_f64 v[102:103], v[42:43], v[90:91]
	s_waitcnt vmcnt(1)
	v_mul_f64 v[106:107], v[6:7], v[62:63]
	v_mul_f64 v[46:47], v[4:5], v[62:63]
	v_fmac_f64_e32 v[106:107], v[4:5], v[60:61]
	v_fma_f64 v[62:63], v[34:35], v[68:69], -v[70:71]
	s_waitcnt vmcnt(0)
	v_mul_f64 v[4:5], v[8:9], v[58:59]
	v_mul_f64 v[120:121], v[10:11], v[58:59]
	v_fma_f64 v[10:11], v[10:11], v[56:57], -v[4:5]
	v_add_f64 v[4:5], v[28:29], v[108:109]
	v_add_f64 v[32:33], v[4:5], v[112:113]
	;; [unrolled: 1-line block ×3, first 2 shown]
	v_fmac_f64_e32 v[28:29], -0.5, v[4:5]
	v_add_f64 v[4:5], v[110:111], -v[114:115]
	v_fma_f64 v[36:37], s[2:3], v[4:5], v[28:29]
	v_fmac_f64_e32 v[28:29], s[6:7], v[4:5]
	v_add_f64 v[4:5], v[30:31], v[110:111]
	v_add_f64 v[34:35], v[4:5], v[114:115]
	v_add_f64 v[4:5], v[110:111], v[114:115]
	v_mul_f64 v[90:91], v[40:41], v[90:91]
	v_fmac_f64_e32 v[30:31], -0.5, v[4:5]
	v_add_f64 v[4:5], v[108:109], -v[112:113]
	v_fmac_f64_e32 v[102:103], v[40:41], v[88:89]
	v_fma_f64 v[70:71], v[42:43], v[88:89], -v[90:91]
	v_fma_f64 v[88:89], v[38:39], v[64:65], -v[44:45]
	v_fma_f64 v[38:39], s[6:7], v[4:5], v[30:31]
	v_fmac_f64_e32 v[30:31], s[2:3], v[4:5]
	v_add_f64 v[4:5], v[24:25], v[98:99]
	v_add_f64 v[40:41], v[4:5], v[54:55]
	;; [unrolled: 1-line block ×3, first 2 shown]
	v_fmac_f64_e32 v[24:25], -0.5, v[4:5]
	v_add_f64 v[4:5], v[52:53], -v[48:49]
	v_fma_f64 v[44:45], s[2:3], v[4:5], v[24:25]
	v_fmac_f64_e32 v[24:25], s[6:7], v[4:5]
	v_add_f64 v[4:5], v[26:27], v[52:53]
	v_add_f64 v[42:43], v[4:5], v[48:49]
	;; [unrolled: 1-line block ×3, first 2 shown]
	v_fmac_f64_e32 v[26:27], -0.5, v[4:5]
	v_add_f64 v[4:5], v[98:99], -v[54:55]
	v_fma_f64 v[90:91], v[6:7], v[60:61], -v[46:47]
	v_fma_f64 v[46:47], s[6:7], v[4:5], v[26:27]
	v_fmac_f64_e32 v[26:27], s[2:3], v[4:5]
	v_add_f64 v[4:5], v[20:21], v[116:117]
	v_add_f64 v[48:49], v[4:5], v[94:95]
	v_add_f64 v[4:5], v[116:117], v[94:95]
	v_fmac_f64_e32 v[20:21], -0.5, v[4:5]
	v_add_f64 v[4:5], v[92:93], -v[96:97]
	v_fma_f64 v[52:53], s[2:3], v[4:5], v[20:21]
	v_fmac_f64_e32 v[20:21], s[6:7], v[4:5]
	v_add_f64 v[4:5], v[22:23], v[92:93]
	v_add_f64 v[50:51], v[4:5], v[96:97]
	v_add_f64 v[4:5], v[92:93], v[96:97]
	v_fmac_f64_e32 v[22:23], -0.5, v[4:5]
	v_add_f64 v[4:5], v[116:117], -v[94:95]
	v_fma_f64 v[54:55], s[6:7], v[4:5], v[22:23]
	v_fmac_f64_e32 v[22:23], s[2:3], v[4:5]
	v_add_f64 v[4:5], v[16:17], v[100:101]
	v_fmac_f64_e32 v[120:121], v[8:9], v[56:57]
	v_add_f64 v[56:57], v[4:5], v[86:87]
	v_add_f64 v[4:5], v[100:101], v[86:87]
	v_fmac_f64_e32 v[16:17], -0.5, v[4:5]
	v_add_f64 v[4:5], v[84:85], -v[62:63]
	v_fma_f64 v[60:61], s[2:3], v[4:5], v[16:17]
	v_fmac_f64_e32 v[16:17], s[6:7], v[4:5]
	v_add_f64 v[4:5], v[18:19], v[84:85]
	v_add_f64 v[58:59], v[4:5], v[62:63]
	v_add_f64 v[4:5], v[84:85], v[62:63]
	v_fmac_f64_e32 v[18:19], -0.5, v[4:5]
	v_add_f64 v[4:5], v[100:101], -v[86:87]
	v_fma_f64 v[62:63], s[6:7], v[4:5], v[18:19]
	v_fmac_f64_e32 v[18:19], s[2:3], v[4:5]
	v_add_f64 v[4:5], v[12:13], v[102:103]
	;; [unrolled: 7-line block ×3, first 2 shown]
	v_add_f64 v[66:67], v[4:5], v[88:89]
	v_add_f64 v[4:5], v[70:71], v[88:89]
	v_fmac_f64_e32 v[14:15], -0.5, v[4:5]
	v_add_f64 v[4:5], v[102:103], -v[104:105]
	v_add_f64 v[6:7], v[106:107], v[120:121]
	v_fma_f64 v[70:71], s[6:7], v[4:5], v[14:15]
	v_fmac_f64_e32 v[14:15], s[2:3], v[4:5]
	v_add_f64 v[4:5], v[0:1], v[106:107]
	v_fmac_f64_e32 v[0:1], -0.5, v[6:7]
	v_add_f64 v[6:7], v[90:91], -v[10:11]
	v_fma_f64 v[8:9], s[2:3], v[6:7], v[0:1]
	v_fmac_f64_e32 v[0:1], s[6:7], v[6:7]
	v_add_f64 v[6:7], v[2:3], v[90:91]
	v_add_f64 v[6:7], v[6:7], v[10:11]
	;; [unrolled: 1-line block ×3, first 2 shown]
	v_fmac_f64_e32 v[2:3], -0.5, v[10:11]
	v_add_f64 v[84:85], v[106:107], -v[120:121]
	v_fma_f64 v[10:11], s[6:7], v[84:85], v[2:3]
	v_fmac_f64_e32 v[2:3], s[2:3], v[84:85]
	s_movk_i32 s2, 0x45
	ds_write_b128 v118, v[32:35]
	ds_write_b128 v118, v[36:39] offset:2560
	ds_write_b128 v118, v[28:31] offset:5120
	v_mov_b32_e32 v28, 0x1e00
	v_cmp_lt_u32_e64 s[2:3], s2, v72
	v_lshlrev_b32_e32 v29, 4, v119
	v_add_f64 v[4:5], v[4:5], v[120:121]
	v_cndmask_b32_e64 v28, 0, v28, s[2:3]
	v_add3_u32 v28, 0, v28, v29
	ds_write_b128 v28, v[40:43]
	ds_write_b128 v28, v[44:47] offset:2560
	ds_write_b128 v28, v[24:27] offset:5120
	;; [unrolled: 1-line block ×5, first 2 shown]
	v_mul_u32_u24_e32 v20, 0x1e00, v122
	v_lshlrev_b32_e32 v21, 4, v123
	v_add3_u32 v20, 0, v20, v21
	ds_write_b128 v20, v[56:59]
	ds_write_b128 v20, v[60:63] offset:2560
	ds_write_b128 v20, v[16:19] offset:5120
	v_lshl_add_u32 v16, v124, 4, 0
	ds_write_b128 v16, v[64:67] offset:15360
	ds_write_b128 v16, v[68:71] offset:17920
	;; [unrolled: 1-line block ×3, first 2 shown]
	s_and_saveexec_b64 s[2:3], vcc
	s_cbranch_execz .LBB0_19
; %bb.18:
	v_lshl_add_u32 v12, v83, 4, 0
	ds_write_b128 v12, v[4:7] offset:15360
	ds_write_b128 v12, v[8:11] offset:17920
	;; [unrolled: 1-line block ×3, first 2 shown]
.LBB0_19:
	s_or_b64 exec, exec, s[2:3]
	s_waitcnt lgkmcnt(0)
	s_barrier
	ds_read_b128 v[28:31], v118
	ds_read_b128 v[68:71], v118 offset:7680
	ds_read_b128 v[60:63], v118 offset:15360
	;; [unrolled: 1-line block ×3, first 2 shown]
	ds_read_b128 v[24:27], v80
	ds_read_b128 v[20:23], v81 offset:2880
	ds_read_b128 v[64:67], v118 offset:9120
	;; [unrolled: 1-line block ×10, first 2 shown]
	s_and_saveexec_b64 s[2:3], vcc
	s_cbranch_execz .LBB0_21
; %bb.20:
	ds_read_b128 v[4:7], v81 offset:7200
	ds_read_b128 v[8:11], v118 offset:14880
	;; [unrolled: 1-line block ×3, first 2 shown]
.LBB0_21:
	s_or_b64 exec, exec, s[2:3]
	s_mov_b64 s[6:7], 0x1d60
	s_movk_i32 s8, 0x1000
	v_lshl_add_u64 v[92:93], v[78:79], 0, s[6:7]
	v_add_co_u32_e64 v78, s[2:3], s8, v78
	s_mov_b32 s9, 0x3febb67a
	s_nop 0
	v_addc_co_u32_e64 v79, s[2:3], 0, v79, s[2:3]
	global_load_dwordx4 v[84:87], v[78:79], off offset:3424
	global_load_dwordx4 v[88:91], v[92:93], off offset:16
	v_lshlrev_b32_e32 v78, 1, v76
	v_mov_b32_e32 v79, 0
	v_lshl_add_u64 v[92:93], v[78:79], 4, s[4:5]
	v_add_co_u32_e64 v102, s[2:3], s8, v92
	v_mov_b32_e32 v78, 0x168
	v_lshl_add_u64 v[100:101], v[92:93], 0, s[6:7]
	v_addc_co_u32_e64 v103, s[2:3], 0, v93, s[2:3]
	v_lshl_add_u32 v78, v72, 1, v78
	global_load_dwordx4 v[92:95], v[102:103], off offset:3424
	global_load_dwordx4 v[96:99], v[100:101], off offset:16
	v_lshl_add_u64 v[100:101], v[78:79], 4, s[4:5]
	v_add_co_u32_e64 v110, s[2:3], s8, v100
	v_lshlrev_b32_e32 v78, 1, v82
	s_nop 0
	v_addc_co_u32_e64 v111, s[2:3], 0, v101, s[2:3]
	v_lshl_add_u64 v[82:83], v[78:79], 4, s[4:5]
	v_lshl_add_u64 v[116:117], v[82:83], 0, s[6:7]
	v_add_co_u32_e64 v82, s[2:3], s8, v82
	v_lshl_add_u64 v[108:109], v[100:101], 0, s[6:7]
	s_nop 0
	v_addc_co_u32_e64 v83, s[2:3], 0, v83, s[2:3]
	v_lshlrev_b32_e32 v78, 1, v77
	global_load_dwordx4 v[100:103], v[110:111], off offset:3424
	global_load_dwordx4 v[104:107], v[108:109], off offset:16
	s_nop 0
	global_load_dwordx4 v[108:111], v[82:83], off offset:3424
	global_load_dwordx4 v[112:115], v[116:117], off offset:16
	v_lshl_add_u64 v[82:83], v[78:79], 4, s[4:5]
	v_add_co_u32_e64 v116, s[2:3], s8, v82
	s_nop 1
	v_addc_co_u32_e64 v117, s[2:3], 0, v83, s[2:3]
	v_lshl_add_u64 v[82:83], v[82:83], 0, s[6:7]
	global_load_dwordx4 v[120:123], v[116:117], off offset:3424
	global_load_dwordx4 v[124:127], v[82:83], off offset:16
	s_mov_b32 s2, 0xe8584caa
	s_mov_b32 s3, 0xbfebb67a
	;; [unrolled: 1-line block ×3, first 2 shown]
	s_waitcnt lgkmcnt(0)
	s_barrier
	s_waitcnt vmcnt(9)
	v_mul_f64 v[82:83], v[70:71], v[86:87]
	v_mul_f64 v[86:87], v[68:69], v[86:87]
	s_waitcnt vmcnt(8)
	v_mul_f64 v[116:117], v[62:63], v[90:91]
	v_mul_f64 v[90:91], v[60:61], v[90:91]
	v_fmac_f64_e32 v[82:83], v[68:69], v[84:85]
	v_fma_f64 v[68:69], v[70:71], v[84:85], -v[86:87]
	v_fmac_f64_e32 v[116:117], v[60:61], v[88:89]
	v_fma_f64 v[60:61], v[62:63], v[88:89], -v[90:91]
	s_waitcnt vmcnt(7)
	v_mul_f64 v[62:63], v[66:67], v[94:95]
	v_mul_f64 v[70:71], v[64:65], v[94:95]
	s_waitcnt vmcnt(6)
	v_mul_f64 v[84:85], v[58:59], v[98:99]
	v_mul_f64 v[86:87], v[56:57], v[98:99]
	v_fmac_f64_e32 v[62:63], v[64:65], v[92:93]
	v_fma_f64 v[64:65], v[66:67], v[92:93], -v[70:71]
	v_fmac_f64_e32 v[84:85], v[56:57], v[96:97]
	v_fma_f64 v[56:57], v[58:59], v[96:97], -v[86:87]
	s_waitcnt vmcnt(5)
	v_mul_f64 v[66:67], v[52:53], v[102:103]
	s_waitcnt vmcnt(4)
	v_mul_f64 v[86:87], v[44:45], v[106:107]
	v_mul_f64 v[58:59], v[54:55], v[102:103]
	v_mul_f64 v[70:71], v[46:47], v[106:107]
	v_fma_f64 v[54:55], v[54:55], v[100:101], -v[66:67]
	v_fma_f64 v[66:67], v[46:47], v[104:105], -v[86:87]
	s_waitcnt vmcnt(2)
	v_mul_f64 v[46:47], v[40:41], v[114:115]
	v_mul_f64 v[88:89], v[42:43], v[114:115]
	v_fma_f64 v[92:93], v[42:43], v[112:113], -v[46:47]
	v_fmac_f64_e32 v[58:59], v[52:53], v[100:101]
	v_fmac_f64_e32 v[88:89], v[40:41], v[112:113]
	s_waitcnt vmcnt(0)
	v_mul_f64 v[42:43], v[32:33], v[126:127]
	v_mul_f64 v[40:41], v[36:37], v[122:123]
	;; [unrolled: 1-line block ×3, first 2 shown]
	v_fma_f64 v[100:101], v[34:35], v[124:125], -v[42:43]
	v_add_f64 v[34:35], v[82:83], v[116:117]
	v_mul_f64 v[94:95], v[38:39], v[122:123]
	v_fma_f64 v[98:99], v[38:39], v[120:121], -v[40:41]
	v_fmac_f64_e32 v[96:97], v[32:33], v[124:125]
	v_add_f64 v[32:33], v[28:29], v[82:83]
	v_fmac_f64_e32 v[28:29], -0.5, v[34:35]
	v_add_f64 v[34:35], v[68:69], -v[60:61]
	v_add_f64 v[38:39], v[68:69], v[60:61]
	v_fmac_f64_e32 v[94:95], v[36:37], v[120:121]
	v_fma_f64 v[36:37], s[2:3], v[34:35], v[28:29]
	v_fmac_f64_e32 v[28:29], s[8:9], v[34:35]
	v_add_f64 v[34:35], v[30:31], v[68:69]
	v_fmac_f64_e32 v[30:31], -0.5, v[38:39]
	v_add_f64 v[40:41], v[82:83], -v[116:117]
	v_add_f64 v[42:43], v[62:63], v[84:85]
	v_fmac_f64_e32 v[70:71], v[44:45], v[104:105]
	v_mul_f64 v[86:87], v[50:51], v[110:111]
	v_mul_f64 v[44:45], v[48:49], v[110:111]
	v_fma_f64 v[38:39], s[8:9], v[40:41], v[30:31]
	v_fmac_f64_e32 v[30:31], s[2:3], v[40:41]
	v_add_f64 v[40:41], v[24:25], v[62:63]
	v_fmac_f64_e32 v[24:25], -0.5, v[42:43]
	v_add_f64 v[42:43], v[64:65], -v[56:57]
	v_add_f64 v[46:47], v[64:65], v[56:57]
	v_fmac_f64_e32 v[86:87], v[48:49], v[108:109]
	v_fma_f64 v[90:91], v[50:51], v[108:109], -v[44:45]
	v_fma_f64 v[44:45], s[2:3], v[42:43], v[24:25]
	v_fmac_f64_e32 v[24:25], s[8:9], v[42:43]
	v_add_f64 v[42:43], v[26:27], v[64:65]
	v_fmac_f64_e32 v[26:27], -0.5, v[46:47]
	v_add_f64 v[48:49], v[62:63], -v[84:85]
	v_add_f64 v[50:51], v[58:59], v[70:71]
	v_fma_f64 v[46:47], s[8:9], v[48:49], v[26:27]
	v_fmac_f64_e32 v[26:27], s[2:3], v[48:49]
	v_add_f64 v[48:49], v[20:21], v[58:59]
	v_fmac_f64_e32 v[20:21], -0.5, v[50:51]
	v_add_f64 v[50:51], v[54:55], -v[66:67]
	v_fma_f64 v[52:53], s[2:3], v[50:51], v[20:21]
	v_fmac_f64_e32 v[20:21], s[8:9], v[50:51]
	v_add_f64 v[50:51], v[22:23], v[54:55]
	v_add_f64 v[54:55], v[54:55], v[66:67]
	;; [unrolled: 1-line block ×3, first 2 shown]
	v_fmac_f64_e32 v[22:23], -0.5, v[54:55]
	v_add_f64 v[56:57], v[58:59], -v[70:71]
	v_add_f64 v[58:59], v[86:87], v[88:89]
	v_fma_f64 v[54:55], s[8:9], v[56:57], v[22:23]
	v_fmac_f64_e32 v[22:23], s[2:3], v[56:57]
	v_add_f64 v[56:57], v[16:17], v[86:87]
	v_fmac_f64_e32 v[16:17], -0.5, v[58:59]
	v_add_f64 v[58:59], v[90:91], -v[92:93]
	v_add_f64 v[62:63], v[90:91], v[92:93]
	v_add_f64 v[34:35], v[34:35], v[60:61]
	;; [unrolled: 1-line block ×3, first 2 shown]
	v_fma_f64 v[60:61], s[2:3], v[58:59], v[16:17]
	v_fmac_f64_e32 v[16:17], s[8:9], v[58:59]
	v_add_f64 v[58:59], v[18:19], v[90:91]
	v_fmac_f64_e32 v[18:19], -0.5, v[62:63]
	v_add_f64 v[64:65], v[86:87], -v[88:89]
	v_add_f64 v[66:67], v[94:95], v[96:97]
	v_add_f64 v[48:49], v[48:49], v[70:71]
	v_fma_f64 v[62:63], s[8:9], v[64:65], v[18:19]
	v_fmac_f64_e32 v[18:19], s[2:3], v[64:65]
	v_add_f64 v[64:65], v[12:13], v[94:95]
	v_fmac_f64_e32 v[12:13], -0.5, v[66:67]
	v_add_f64 v[66:67], v[98:99], -v[100:101]
	v_add_f64 v[70:71], v[98:99], v[100:101]
	v_add_f64 v[32:33], v[32:33], v[116:117]
	;; [unrolled: 7-line block ×3, first 2 shown]
	v_add_f64 v[58:59], v[58:59], v[92:93]
	v_add_f64 v[64:65], v[64:65], v[96:97]
	;; [unrolled: 1-line block ×3, first 2 shown]
	v_fma_f64 v[70:71], s[8:9], v[82:83], v[14:15]
	v_fmac_f64_e32 v[14:15], s[2:3], v[82:83]
	ds_write_b128 v118, v[32:35]
	ds_write_b128 v118, v[36:39] offset:7680
	ds_write_b128 v118, v[28:31] offset:15360
	ds_write_b128 v80, v[40:43]
	ds_write_b128 v80, v[44:47] offset:7680
	ds_write_b128 v80, v[24:27] offset:15360
	;; [unrolled: 1-line block ×11, first 2 shown]
	s_and_saveexec_b64 s[10:11], vcc
	s_cbranch_execz .LBB0_23
; %bb.22:
	v_subrev_u32_e32 v12, 30, v72
	v_cndmask_b32_e32 v12, v12, v73, vcc
	v_lshlrev_b32_e32 v78, 1, v12
	v_lshl_add_u64 v[12:13], v[78:79], 4, s[4:5]
	v_add_co_u32_e32 v22, vcc, 0x1000, v12
	v_lshl_add_u64 v[20:21], v[12:13], 0, s[6:7]
	s_nop 0
	v_addc_co_u32_e32 v23, vcc, 0, v13, vcc
	global_load_dwordx4 v[12:15], v[22:23], off offset:3424
	global_load_dwordx4 v[16:19], v[20:21], off offset:16
	s_waitcnt vmcnt(1)
	v_mul_f64 v[20:21], v[8:9], v[14:15]
	s_waitcnt vmcnt(0)
	v_mul_f64 v[22:23], v[0:1], v[18:19]
	v_mul_f64 v[14:15], v[10:11], v[14:15]
	;; [unrolled: 1-line block ×3, first 2 shown]
	v_fma_f64 v[10:11], v[10:11], v[12:13], -v[20:21]
	v_fma_f64 v[20:21], v[2:3], v[16:17], -v[22:23]
	v_fmac_f64_e32 v[14:15], v[8:9], v[12:13]
	v_fmac_f64_e32 v[18:19], v[0:1], v[16:17]
	v_add_f64 v[0:1], v[10:11], v[20:21]
	v_add_f64 v[8:9], v[14:15], -v[18:19]
	v_add_f64 v[12:13], v[6:7], v[10:11]
	v_add_f64 v[16:17], v[10:11], -v[20:21]
	v_add_f64 v[10:11], v[14:15], v[18:19]
	v_add_f64 v[14:15], v[4:5], v[14:15]
	v_fma_f64 v[2:3], -0.5, v[0:1], v[6:7]
	v_add_f64 v[6:7], v[12:13], v[20:21]
	v_fma_f64 v[0:1], -0.5, v[10:11], v[4:5]
	v_add_f64 v[4:5], v[14:15], v[18:19]
	v_fma_f64 v[10:11], s[2:3], v[8:9], v[2:3]
	v_fmac_f64_e32 v[2:3], s[8:9], v[8:9]
	v_fma_f64 v[8:9], s[8:9], v[16:17], v[0:1]
	v_fmac_f64_e32 v[0:1], s[2:3], v[16:17]
	ds_write_b128 v118, v[4:7] offset:7200
	ds_write_b128 v118, v[0:3] offset:14880
	ds_write_b128 v118, v[8:11] offset:22560
.LBB0_23:
	s_or_b64 exec, exec, s[10:11]
	s_waitcnt lgkmcnt(0)
	s_barrier
	ds_read_b128 v[4:7], v118
	s_add_u32 s2, s4, 0x5960
	v_lshlrev_b32_e32 v0, 4, v72
	s_addc_u32 s3, s5, 0
	v_sub_u32_e32 v14, 0, v0
	v_cmp_ne_u32_e32 vcc, 0, v72
                                        ; implicit-def: $vgpr0_vgpr1
                                        ; implicit-def: $vgpr10_vgpr11
                                        ; implicit-def: $vgpr12_vgpr13
                                        ; implicit-def: $vgpr8_vgpr9
	s_and_saveexec_b64 s[4:5], vcc
	s_xor_b64 s[4:5], exec, s[4:5]
	s_cbranch_execz .LBB0_25
; %bb.24:
	v_mov_b32_e32 v73, 0
	v_lshl_add_u64 v[0:1], v[72:73], 4, s[2:3]
	global_load_dwordx4 v[0:3], v[0:1], off
	ds_read_b128 v[8:11], v14 offset:23040
	s_waitcnt lgkmcnt(0)
	v_add_f64 v[16:17], v[4:5], v[8:9]
	v_add_f64 v[4:5], v[4:5], -v[8:9]
	v_add_f64 v[12:13], v[6:7], v[10:11]
	v_add_f64 v[6:7], v[6:7], -v[10:11]
	v_mul_f64 v[4:5], v[4:5], 0.5
	v_mul_f64 v[8:9], v[12:13], 0.5
	;; [unrolled: 1-line block ×3, first 2 shown]
	s_waitcnt vmcnt(0)
	v_mul_f64 v[18:19], v[4:5], v[2:3]
	v_fma_f64 v[12:13], v[8:9], v[2:3], v[6:7]
	v_fma_f64 v[2:3], v[8:9], v[2:3], -v[6:7]
	v_fma_f64 v[10:11], 0.5, v[16:17], v[18:19]
	v_fma_f64 v[6:7], v[16:17], 0.5, -v[18:19]
	v_fma_f64 v[12:13], -v[0:1], v[4:5], v[12:13]
	v_fma_f64 v[2:3], -v[0:1], v[4:5], v[2:3]
	v_fmac_f64_e32 v[10:11], v[8:9], v[0:1]
	v_fma_f64 v[0:1], -v[8:9], v[0:1], v[6:7]
	v_mov_b64_e32 v[8:9], v[72:73]
                                        ; implicit-def: $vgpr4_vgpr5
.LBB0_25:
	s_andn2_saveexec_b64 s[4:5], s[4:5]
	s_cbranch_execz .LBB0_27
; %bb.26:
	v_mov_b32_e32 v15, 0
	ds_read_b64 v[2:3], v15 offset:11528
	v_mov_b64_e32 v[12:13], 0
	s_waitcnt lgkmcnt(1)
	v_add_f64 v[10:11], v[4:5], v[6:7]
	v_add_f64 v[0:1], v[4:5], -v[6:7]
	v_mov_b64_e32 v[8:9], 0
	s_waitcnt lgkmcnt(0)
	v_xor_b32_e32 v3, 0x80000000, v3
	ds_write_b64 v15, v[2:3] offset:11528
	v_mov_b64_e32 v[2:3], v[12:13]
.LBB0_27:
	s_or_b64 exec, exec, s[4:5]
	v_mov_b32_e32 v77, 0
	s_waitcnt lgkmcnt(0)
	v_lshl_add_u64 v[4:5], v[76:77], 4, s[2:3]
	global_load_dwordx4 v[4:7], v[4:5], off
	v_lshl_add_u64 v[28:29], v[8:9], 4, s[2:3]
	global_load_dwordx4 v[16:19], v[28:29], off offset:2880
	s_movk_i32 s2, 0x1000
	v_add_co_u32_e32 v30, vcc, s2, v28
	s_movk_i32 s2, 0x2000
	s_nop 0
	v_addc_co_u32_e32 v31, vcc, 0, v29, vcc
	global_load_dwordx4 v[20:23], v[30:31], off offset:224
	ds_write2_b64 v118, v[10:11], v[12:13] offset1:1
	ds_write_b128 v14, v[0:3] offset:23040
	ds_read_b128 v[0:3], v80
	ds_read_b128 v[10:13], v14 offset:21600
	global_load_dwordx4 v[24:27], v[30:31], off offset:1664
	v_add_co_u32_e32 v28, vcc, s2, v28
	v_add_u32_e32 v15, 0x2000, v118
	s_waitcnt lgkmcnt(0)
	v_add_f64 v[32:33], v[0:1], v[10:11]
	v_add_f64 v[0:1], v[0:1], -v[10:11]
	v_add_f64 v[34:35], v[2:3], v[12:13]
	v_add_f64 v[2:3], v[2:3], -v[12:13]
	v_mul_f64 v[0:1], v[0:1], 0.5
	v_mul_f64 v[10:11], v[34:35], 0.5
	;; [unrolled: 1-line block ×3, first 2 shown]
	v_addc_co_u32_e32 v29, vcc, 0, v29, vcc
	s_waitcnt vmcnt(3)
	v_mul_f64 v[12:13], v[0:1], v[6:7]
	v_fma_f64 v[34:35], v[10:11], v[6:7], v[2:3]
	v_fma_f64 v[2:3], v[10:11], v[6:7], -v[2:3]
	v_fma_f64 v[6:7], 0.5, v[32:33], v[12:13]
	v_fma_f64 v[34:35], -v[4:5], v[0:1], v[34:35]
	v_fma_f64 v[12:13], v[32:33], 0.5, -v[12:13]
	v_fmac_f64_e32 v[6:7], v[10:11], v[4:5]
	v_fma_f64 v[2:3], -v[4:5], v[0:1], v[2:3]
	v_fma_f64 v[0:1], -v[10:11], v[4:5], v[12:13]
	ds_write2_b64 v80, v[6:7], v[34:35] offset1:1
	ds_write_b128 v14, v[0:3] offset:21600
	ds_read_b128 v[0:3], v81 offset:2880
	ds_read_b128 v[4:7], v14 offset:20160
	global_load_dwordx4 v[10:13], v[30:31], off offset:3104
	s_waitcnt lgkmcnt(0)
	v_add_f64 v[30:31], v[0:1], v[4:5]
	v_add_f64 v[32:33], v[2:3], v[6:7]
	v_add_f64 v[0:1], v[0:1], -v[4:5]
	v_add_f64 v[2:3], v[2:3], -v[6:7]
	v_mul_f64 v[4:5], v[32:33], 0.5
	v_mul_f64 v[0:1], v[0:1], 0.5
	v_mul_f64 v[2:3], v[2:3], 0.5
	s_waitcnt vmcnt(3)
	v_mul_f64 v[6:7], v[0:1], v[18:19]
	v_fma_f64 v[32:33], v[4:5], v[18:19], v[2:3]
	v_fma_f64 v[2:3], v[4:5], v[18:19], -v[2:3]
	v_fma_f64 v[18:19], 0.5, v[30:31], v[6:7]
	v_fma_f64 v[32:33], -v[16:17], v[0:1], v[32:33]
	v_fma_f64 v[6:7], v[30:31], 0.5, -v[6:7]
	v_fma_f64 v[0:1], -v[16:17], v[0:1], v[2:3]
	v_fmac_f64_e32 v[18:19], v[4:5], v[16:17]
	ds_write_b64 v81, v[32:33] offset:2888
	v_fma_f64 v[2:3], -v[4:5], v[16:17], v[6:7]
	ds_write_b64 v14, v[0:1] offset:20168
	ds_write_b64 v81, v[18:19] offset:2880
	ds_write_b64 v14, v[2:3] offset:20160
	ds_read_b128 v[0:3], v81 offset:4320
	ds_read_b128 v[4:7], v14 offset:18720
	global_load_dwordx4 v[16:19], v[28:29], off offset:448
	s_waitcnt lgkmcnt(0)
	v_add_f64 v[30:31], v[0:1], v[4:5]
	v_add_f64 v[32:33], v[2:3], v[6:7]
	v_add_f64 v[0:1], v[0:1], -v[4:5]
	v_add_f64 v[2:3], v[2:3], -v[6:7]
	v_mul_f64 v[4:5], v[32:33], 0.5
	v_mul_f64 v[0:1], v[0:1], 0.5
	v_mul_f64 v[2:3], v[2:3], 0.5
	s_waitcnt vmcnt(3)
	v_mul_f64 v[6:7], v[0:1], v[22:23]
	v_fma_f64 v[32:33], v[4:5], v[22:23], v[2:3]
	v_fma_f64 v[2:3], v[4:5], v[22:23], -v[2:3]
	v_fma_f64 v[22:23], 0.5, v[30:31], v[6:7]
	v_fma_f64 v[32:33], -v[20:21], v[0:1], v[32:33]
	v_fma_f64 v[6:7], v[30:31], 0.5, -v[6:7]
	v_fma_f64 v[0:1], -v[20:21], v[0:1], v[2:3]
	v_fmac_f64_e32 v[22:23], v[4:5], v[20:21]
	ds_write_b64 v81, v[32:33] offset:4328
	v_fma_f64 v[2:3], -v[4:5], v[20:21], v[6:7]
	ds_write_b64 v14, v[0:1] offset:18728
	ds_write_b64 v81, v[22:23] offset:4320
	ds_write_b64 v14, v[2:3] offset:18720
	;; [unrolled: 25-line block ×3, first 2 shown]
	ds_read_b128 v[0:3], v81 offset:7200
	ds_read_b128 v[4:7], v14 offset:15840
	s_waitcnt lgkmcnt(0)
	v_add_f64 v[24:25], v[0:1], v[4:5]
	v_add_f64 v[26:27], v[2:3], v[6:7]
	v_add_f64 v[0:1], v[0:1], -v[4:5]
	v_add_f64 v[2:3], v[2:3], -v[6:7]
	v_mul_f64 v[4:5], v[26:27], 0.5
	v_mul_f64 v[0:1], v[0:1], 0.5
	;; [unrolled: 1-line block ×3, first 2 shown]
	s_waitcnt vmcnt(2)
	v_mul_f64 v[6:7], v[0:1], v[12:13]
	v_fma_f64 v[26:27], v[4:5], v[12:13], v[2:3]
	v_fma_f64 v[2:3], v[4:5], v[12:13], -v[2:3]
	v_fma_f64 v[12:13], 0.5, v[24:25], v[6:7]
	v_fma_f64 v[26:27], -v[10:11], v[0:1], v[26:27]
	v_fma_f64 v[6:7], v[24:25], 0.5, -v[6:7]
	v_fma_f64 v[0:1], -v[10:11], v[0:1], v[2:3]
	v_fmac_f64_e32 v[12:13], v[4:5], v[10:11]
	ds_write_b64 v81, v[26:27] offset:7208
	v_fma_f64 v[2:3], -v[4:5], v[10:11], v[6:7]
	ds_write_b64 v14, v[0:1] offset:15848
	ds_write_b64 v81, v[12:13] offset:7200
	;; [unrolled: 1-line block ×3, first 2 shown]
	ds_read_b128 v[0:3], v118 offset:8640
	ds_read_b128 v[4:7], v14 offset:14400
	s_waitcnt lgkmcnt(0)
	v_add_f64 v[10:11], v[0:1], v[4:5]
	v_add_f64 v[0:1], v[0:1], -v[4:5]
	v_add_f64 v[12:13], v[2:3], v[6:7]
	v_add_f64 v[2:3], v[2:3], -v[6:7]
	v_mul_f64 v[6:7], v[0:1], 0.5
	v_mul_f64 v[4:5], v[12:13], 0.5
	;; [unrolled: 1-line block ×3, first 2 shown]
	s_waitcnt vmcnt(1)
	v_mul_f64 v[0:1], v[6:7], v[18:19]
	v_fma_f64 v[12:13], 0.5, v[10:11], v[0:1]
	v_fma_f64 v[24:25], v[4:5], v[18:19], v[2:3]
	v_fmac_f64_e32 v[12:13], v[4:5], v[16:17]
	v_fma_f64 v[24:25], -v[16:17], v[6:7], v[24:25]
	v_fma_f64 v[0:1], v[10:11], 0.5, -v[0:1]
	v_fma_f64 v[2:3], v[4:5], v[18:19], -v[2:3]
	v_fma_f64 v[0:1], -v[4:5], v[16:17], v[0:1]
	v_fma_f64 v[2:3], -v[16:17], v[6:7], v[2:3]
	ds_write2_b64 v15, v[12:13], v[24:25] offset0:56 offset1:57
	ds_write_b128 v14, v[0:3] offset:14400
	ds_read_b128 v[0:3], v118 offset:10080
	ds_read_b128 v[4:7], v14 offset:12960
	s_waitcnt lgkmcnt(0)
	v_add_f64 v[10:11], v[0:1], v[4:5]
	v_add_f64 v[0:1], v[0:1], -v[4:5]
	v_add_f64 v[12:13], v[2:3], v[6:7]
	v_add_f64 v[2:3], v[2:3], -v[6:7]
	v_mul_f64 v[4:5], v[0:1], 0.5
	v_mul_f64 v[12:13], v[12:13], 0.5
	;; [unrolled: 1-line block ×3, first 2 shown]
	s_waitcnt vmcnt(0)
	v_mul_f64 v[0:1], v[4:5], v[22:23]
	v_fma_f64 v[6:7], 0.5, v[10:11], v[0:1]
	v_fma_f64 v[16:17], v[12:13], v[22:23], v[2:3]
	v_fmac_f64_e32 v[6:7], v[12:13], v[20:21]
	v_fma_f64 v[16:17], -v[20:21], v[4:5], v[16:17]
	v_fma_f64 v[0:1], v[10:11], 0.5, -v[0:1]
	v_fma_f64 v[2:3], v[12:13], v[22:23], -v[2:3]
	v_fma_f64 v[0:1], -v[12:13], v[20:21], v[0:1]
	v_fma_f64 v[2:3], -v[20:21], v[4:5], v[2:3]
	ds_write2_b64 v15, v[6:7], v[16:17] offset0:236 offset1:237
	ds_write_b128 v14, v[0:3] offset:12960
	s_waitcnt lgkmcnt(0)
	s_barrier
	s_and_saveexec_b64 s[2:3], s[0:1]
	s_cbranch_execz .LBB0_30
; %bb.28:
	ds_read_b128 v[0:3], v118
	ds_read_b128 v[4:7], v118 offset:1440
	ds_read_b128 v[10:13], v118 offset:2880
	v_lshl_add_u64 v[14:15], v[8:9], 4, v[74:75]
	s_movk_i32 s0, 0x59
	s_waitcnt lgkmcnt(2)
	global_store_dwordx4 v[14:15], v[0:3], off
	s_waitcnt lgkmcnt(1)
	global_store_dwordx4 v[14:15], v[4:7], off offset:1440
	s_waitcnt lgkmcnt(0)
	global_store_dwordx4 v[14:15], v[10:13], off offset:2880
	ds_read_b128 v[0:3], v118 offset:4320
	ds_read_b128 v[4:7], v118 offset:5760
	ds_read_b128 v[8:11], v118 offset:7200
	v_add_co_u32_e32 v12, vcc, 0x1000, v14
	s_nop 1
	v_addc_co_u32_e32 v13, vcc, 0, v15, vcc
	s_waitcnt lgkmcnt(2)
	global_store_dwordx4 v[12:13], v[0:3], off offset:224
	s_waitcnt lgkmcnt(1)
	global_store_dwordx4 v[12:13], v[4:7], off offset:1664
	s_waitcnt lgkmcnt(0)
	global_store_dwordx4 v[12:13], v[8:11], off offset:3104
	ds_read_b128 v[0:3], v118 offset:8640
	ds_read_b128 v[4:7], v118 offset:10080
	ds_read_b128 v[8:11], v118 offset:11520
	v_add_co_u32_e32 v12, vcc, 0x2000, v14
	s_nop 1
	v_addc_co_u32_e32 v13, vcc, 0, v15, vcc
	s_waitcnt lgkmcnt(2)
	global_store_dwordx4 v[12:13], v[0:3], off offset:448
	;; [unrolled: 12-line block ×4, first 2 shown]
	s_waitcnt lgkmcnt(1)
	global_store_dwordx4 v[12:13], v[4:7], off offset:2336
	ds_read_b128 v[0:3], v118 offset:21600
	s_waitcnt lgkmcnt(1)
	global_store_dwordx4 v[12:13], v[8:11], off offset:3776
	v_add_co_u32_e32 v4, vcc, 0x5000, v14
	s_nop 1
	v_addc_co_u32_e32 v5, vcc, 0, v15, vcc
	v_cmp_eq_u32_e32 vcc, s0, v72
	s_waitcnt lgkmcnt(0)
	global_store_dwordx4 v[4:5], v[0:3], off offset:1120
	s_and_b64 exec, exec, vcc
	s_cbranch_execz .LBB0_30
; %bb.29:
	v_mov_b32_e32 v0, 0
	ds_read_b128 v[0:3], v0 offset:23040
	v_add_co_u32_e32 v4, vcc, 0x5000, v74
	s_nop 1
	v_addc_co_u32_e32 v5, vcc, 0, v75, vcc
	s_waitcnt lgkmcnt(0)
	global_store_dwordx4 v[4:5], v[0:3], off offset:2560
.LBB0_30:
	s_endpgm
	.section	.rodata,"a",@progbits
	.p2align	6, 0x0
	.amdhsa_kernel fft_rtc_back_len1440_factors_10_16_3_3_wgs_90_tpt_90_halfLds_dp_ip_CI_unitstride_sbrr_R2C_dirReg
		.amdhsa_group_segment_fixed_size 0
		.amdhsa_private_segment_fixed_size 0
		.amdhsa_kernarg_size 88
		.amdhsa_user_sgpr_count 2
		.amdhsa_user_sgpr_dispatch_ptr 0
		.amdhsa_user_sgpr_queue_ptr 0
		.amdhsa_user_sgpr_kernarg_segment_ptr 1
		.amdhsa_user_sgpr_dispatch_id 0
		.amdhsa_user_sgpr_kernarg_preload_length 0
		.amdhsa_user_sgpr_kernarg_preload_offset 0
		.amdhsa_user_sgpr_private_segment_size 0
		.amdhsa_uses_dynamic_stack 0
		.amdhsa_enable_private_segment 0
		.amdhsa_system_sgpr_workgroup_id_x 1
		.amdhsa_system_sgpr_workgroup_id_y 0
		.amdhsa_system_sgpr_workgroup_id_z 0
		.amdhsa_system_sgpr_workgroup_info 0
		.amdhsa_system_vgpr_workitem_id 0
		.amdhsa_next_free_vgpr 128
		.amdhsa_next_free_sgpr 22
		.amdhsa_accum_offset 128
		.amdhsa_reserve_vcc 1
		.amdhsa_float_round_mode_32 0
		.amdhsa_float_round_mode_16_64 0
		.amdhsa_float_denorm_mode_32 3
		.amdhsa_float_denorm_mode_16_64 3
		.amdhsa_dx10_clamp 1
		.amdhsa_ieee_mode 1
		.amdhsa_fp16_overflow 0
		.amdhsa_tg_split 0
		.amdhsa_exception_fp_ieee_invalid_op 0
		.amdhsa_exception_fp_denorm_src 0
		.amdhsa_exception_fp_ieee_div_zero 0
		.amdhsa_exception_fp_ieee_overflow 0
		.amdhsa_exception_fp_ieee_underflow 0
		.amdhsa_exception_fp_ieee_inexact 0
		.amdhsa_exception_int_div_zero 0
	.end_amdhsa_kernel
	.text
.Lfunc_end0:
	.size	fft_rtc_back_len1440_factors_10_16_3_3_wgs_90_tpt_90_halfLds_dp_ip_CI_unitstride_sbrr_R2C_dirReg, .Lfunc_end0-fft_rtc_back_len1440_factors_10_16_3_3_wgs_90_tpt_90_halfLds_dp_ip_CI_unitstride_sbrr_R2C_dirReg
                                        ; -- End function
	.section	.AMDGPU.csdata,"",@progbits
; Kernel info:
; codeLenInByte = 12032
; NumSgprs: 28
; NumVgprs: 128
; NumAgprs: 0
; TotalNumVgprs: 128
; ScratchSize: 0
; MemoryBound: 0
; FloatMode: 240
; IeeeMode: 1
; LDSByteSize: 0 bytes/workgroup (compile time only)
; SGPRBlocks: 3
; VGPRBlocks: 15
; NumSGPRsForWavesPerEU: 28
; NumVGPRsForWavesPerEU: 128
; AccumOffset: 128
; Occupancy: 4
; WaveLimiterHint : 1
; COMPUTE_PGM_RSRC2:SCRATCH_EN: 0
; COMPUTE_PGM_RSRC2:USER_SGPR: 2
; COMPUTE_PGM_RSRC2:TRAP_HANDLER: 0
; COMPUTE_PGM_RSRC2:TGID_X_EN: 1
; COMPUTE_PGM_RSRC2:TGID_Y_EN: 0
; COMPUTE_PGM_RSRC2:TGID_Z_EN: 0
; COMPUTE_PGM_RSRC2:TIDIG_COMP_CNT: 0
; COMPUTE_PGM_RSRC3_GFX90A:ACCUM_OFFSET: 31
; COMPUTE_PGM_RSRC3_GFX90A:TG_SPLIT: 0
	.text
	.p2alignl 6, 3212836864
	.fill 256, 4, 3212836864
	.type	__hip_cuid_a15e6e2f16559364,@object ; @__hip_cuid_a15e6e2f16559364
	.section	.bss,"aw",@nobits
	.globl	__hip_cuid_a15e6e2f16559364
__hip_cuid_a15e6e2f16559364:
	.byte	0                               ; 0x0
	.size	__hip_cuid_a15e6e2f16559364, 1

	.ident	"AMD clang version 19.0.0git (https://github.com/RadeonOpenCompute/llvm-project roc-6.4.0 25133 c7fe45cf4b819c5991fe208aaa96edf142730f1d)"
	.section	".note.GNU-stack","",@progbits
	.addrsig
	.addrsig_sym __hip_cuid_a15e6e2f16559364
	.amdgpu_metadata
---
amdhsa.kernels:
  - .agpr_count:     0
    .args:
      - .actual_access:  read_only
        .address_space:  global
        .offset:         0
        .size:           8
        .value_kind:     global_buffer
      - .offset:         8
        .size:           8
        .value_kind:     by_value
      - .actual_access:  read_only
        .address_space:  global
        .offset:         16
        .size:           8
        .value_kind:     global_buffer
      - .actual_access:  read_only
        .address_space:  global
        .offset:         24
        .size:           8
        .value_kind:     global_buffer
      - .offset:         32
        .size:           8
        .value_kind:     by_value
      - .actual_access:  read_only
        .address_space:  global
        .offset:         40
        .size:           8
        .value_kind:     global_buffer
      - .actual_access:  read_only
        .address_space:  global
        .offset:         48
        .size:           8
        .value_kind:     global_buffer
      - .offset:         56
        .size:           4
        .value_kind:     by_value
      - .actual_access:  read_only
        .address_space:  global
        .offset:         64
        .size:           8
        .value_kind:     global_buffer
      - .actual_access:  read_only
        .address_space:  global
        .offset:         72
        .size:           8
        .value_kind:     global_buffer
      - .address_space:  global
        .offset:         80
        .size:           8
        .value_kind:     global_buffer
    .group_segment_fixed_size: 0
    .kernarg_segment_align: 8
    .kernarg_segment_size: 88
    .language:       OpenCL C
    .language_version:
      - 2
      - 0
    .max_flat_workgroup_size: 90
    .name:           fft_rtc_back_len1440_factors_10_16_3_3_wgs_90_tpt_90_halfLds_dp_ip_CI_unitstride_sbrr_R2C_dirReg
    .private_segment_fixed_size: 0
    .sgpr_count:     28
    .sgpr_spill_count: 0
    .symbol:         fft_rtc_back_len1440_factors_10_16_3_3_wgs_90_tpt_90_halfLds_dp_ip_CI_unitstride_sbrr_R2C_dirReg.kd
    .uniform_work_group_size: 1
    .uses_dynamic_stack: false
    .vgpr_count:     128
    .vgpr_spill_count: 0
    .wavefront_size: 64
amdhsa.target:   amdgcn-amd-amdhsa--gfx950
amdhsa.version:
  - 1
  - 2
...

	.end_amdgpu_metadata
